;; amdgpu-corpus repo=ROCm/rocFFT kind=compiled arch=gfx906 opt=O3
	.text
	.amdgcn_target "amdgcn-amd-amdhsa--gfx906"
	.amdhsa_code_object_version 6
	.protected	bluestein_single_fwd_len891_dim1_sp_op_CI_CI ; -- Begin function bluestein_single_fwd_len891_dim1_sp_op_CI_CI
	.globl	bluestein_single_fwd_len891_dim1_sp_op_CI_CI
	.p2align	8
	.type	bluestein_single_fwd_len891_dim1_sp_op_CI_CI,@function
bluestein_single_fwd_len891_dim1_sp_op_CI_CI: ; @bluestein_single_fwd_len891_dim1_sp_op_CI_CI
; %bb.0:
	s_load_dwordx4 s[0:3], s[4:5], 0x28
	v_mul_u32_u24_e32 v1, 0x296, v0
	v_lshrrev_b32_e32 v1, 16, v1
	v_lshl_add_u32 v62, s6, 1, v1
	v_mov_b32_e32 v63, 0
	s_waitcnt lgkmcnt(0)
	v_cmp_gt_u64_e32 vcc, s[0:1], v[62:63]
	s_and_saveexec_b64 s[0:1], vcc
	s_cbranch_execz .LBB0_10
; %bb.1:
	s_load_dwordx4 s[8:11], s[4:5], 0x18
	s_load_dwordx4 s[12:15], s[4:5], 0x0
	v_mul_lo_u16_e32 v2, 0x63, v1
	v_sub_u16_e32 v82, v0, v2
	v_lshlrev_b32_e32 v24, 3, v82
	s_waitcnt lgkmcnt(0)
	s_load_dwordx4 s[16:19], s[8:9], 0x0
	s_movk_i32 s6, 0x1000
	s_load_dwordx2 s[4:5], s[4:5], 0x38
	s_waitcnt lgkmcnt(0)
	v_mad_u64_u32 v[2:3], s[0:1], s18, v62, 0
	v_mad_u64_u32 v[4:5], s[0:1], s16, v82, 0
	v_mov_b32_e32 v0, v3
	v_mov_b32_e32 v3, v5
	v_mad_u64_u32 v[5:6], s[0:1], s19, v62, v[0:1]
	v_mad_u64_u32 v[6:7], s[0:1], s17, v82, v[3:4]
	v_mov_b32_e32 v3, v5
	v_lshlrev_b64 v[2:3], 3, v[2:3]
	v_mov_b32_e32 v0, s3
	v_mov_b32_e32 v5, v6
	v_add_co_u32_e32 v6, vcc, s2, v2
	v_addc_co_u32_e32 v0, vcc, v0, v3, vcc
	v_lshlrev_b64 v[2:3], 3, v[4:5]
	v_add_co_u32_e64 v44, s[2:3], s12, v24
	v_add_co_u32_e32 v2, vcc, v6, v2
	v_addc_co_u32_e32 v3, vcc, v0, v3, vcc
	v_mov_b32_e32 v0, s13
	s_mul_i32 s0, s17, 0x318
	s_mul_hi_u32 s1, s16, 0x318
	v_addc_co_u32_e64 v0, vcc, 0, v0, s[2:3]
	s_add_i32 s0, s1, s0
	s_mul_i32 s1, s16, 0x318
	v_mov_b32_e32 v5, s0
	v_add_co_u32_e32 v4, vcc, s1, v2
	v_addc_co_u32_e32 v5, vcc, v3, v5, vcc
	v_mov_b32_e32 v7, s0
	v_add_co_u32_e32 v6, vcc, s1, v4
	v_addc_co_u32_e32 v7, vcc, v5, v7, vcc
	;; [unrolled: 3-line block ×3, first 2 shown]
	global_load_dwordx2 v[10:11], v[2:3], off
	global_load_dwordx2 v[12:13], v[4:5], off
	;; [unrolled: 1-line block ×4, first 2 shown]
	global_load_dwordx2 v[77:78], v24, s[12:13]
	global_load_dwordx2 v[75:76], v24, s[12:13] offset:792
	global_load_dwordx2 v[73:74], v24, s[12:13] offset:1584
	;; [unrolled: 1-line block ×3, first 2 shown]
	v_mov_b32_e32 v3, s0
	v_add_co_u32_e32 v2, vcc, s1, v8
	v_addc_co_u32_e32 v3, vcc, v9, v3, vcc
	global_load_dwordx2 v[4:5], v[2:3], off
	v_mov_b32_e32 v6, s0
	v_add_co_u32_e32 v2, vcc, s1, v2
	v_addc_co_u32_e32 v3, vcc, v3, v6, vcc
	global_load_dwordx2 v[6:7], v[2:3], off
	global_load_dwordx2 v[71:72], v24, s[12:13] offset:3168
	global_load_dwordx2 v[67:68], v24, s[12:13] offset:3960
	v_mov_b32_e32 v8, s0
	v_add_co_u32_e32 v2, vcc, s1, v2
	v_addc_co_u32_e32 v3, vcc, v3, v8, vcc
	v_add_co_u32_e32 v18, vcc, s6, v44
	v_addc_co_u32_e32 v19, vcc, 0, v0, vcc
	global_load_dwordx2 v[8:9], v[2:3], off
	v_mov_b32_e32 v0, s0
	v_add_co_u32_e32 v2, vcc, s1, v2
	global_load_dwordx2 v[65:66], v[18:19], off offset:656
	v_addc_co_u32_e32 v3, vcc, v3, v0, vcc
	global_load_dwordx2 v[20:21], v[2:3], off
	global_load_dwordx2 v[63:64], v[18:19], off offset:1448
	v_add_co_u32_e32 v2, vcc, s1, v2
	v_addc_co_u32_e32 v3, vcc, v3, v0, vcc
	global_load_dwordx2 v[22:23], v[2:3], off
	global_load_dwordx2 v[60:61], v[18:19], off offset:2240
	v_and_b32_e32 v0, 1, v1
	v_mov_b32_e32 v1, 0x37b
	v_cmp_eq_u32_e32 vcc, 1, v0
	v_cndmask_b32_e32 v1, 0, v1, vcc
	v_lshlrev_b32_e32 v83, 3, v1
	v_add_u32_e32 v81, v83, v24
	s_load_dwordx4 s[8:11], s[10:11], 0x0
	s_mov_b32 s0, 0xbf248dbb
	s_waitcnt vmcnt(13)
	v_mul_f32_e32 v0, v11, v78
	v_mul_f32_e32 v1, v10, v78
	s_waitcnt vmcnt(12)
	v_mul_f32_e32 v2, v13, v76
	v_mul_f32_e32 v3, v12, v76
	v_fmac_f32_e32 v0, v10, v77
	v_fma_f32 v1, v11, v77, -v1
	v_fmac_f32_e32 v2, v12, v75
	v_fma_f32 v3, v13, v75, -v3
	ds_write2_b64 v81, v[0:1], v[2:3] offset1:99
	s_waitcnt vmcnt(11)
	v_mul_f32_e32 v0, v15, v74
	v_mul_f32_e32 v1, v14, v74
	s_waitcnt vmcnt(10)
	v_mul_f32_e32 v2, v17, v70
	v_mul_f32_e32 v3, v16, v70
	v_fmac_f32_e32 v0, v14, v73
	v_fma_f32 v1, v15, v73, -v1
	v_fmac_f32_e32 v2, v16, v69
	v_fma_f32 v3, v17, v69, -v3
	v_add_u32_e32 v10, 0x400, v81
	ds_write2_b64 v10, v[0:1], v[2:3] offset0:70 offset1:169
	s_waitcnt vmcnt(7)
	v_mul_f32_e32 v2, v5, v72
	v_mul_f32_e32 v0, v4, v72
	v_fmac_f32_e32 v2, v4, v71
	v_fma_f32 v3, v5, v71, -v0
	s_waitcnt vmcnt(6)
	v_mul_f32_e32 v4, v7, v68
	v_mul_f32_e32 v0, v6, v68
	v_fmac_f32_e32 v4, v6, v67
	v_fma_f32 v5, v7, v67, -v0
	v_add_u32_e32 v1, 0x800, v81
	ds_write2_b64 v1, v[2:3], v[4:5] offset0:140 offset1:239
	s_waitcnt vmcnt(4)
	v_mul_f32_e32 v0, v8, v66
	v_mul_f32_e32 v2, v9, v66
	v_fma_f32 v3, v9, v65, -v0
	s_waitcnt vmcnt(2)
	v_mul_f32_e32 v4, v21, v64
	v_mul_f32_e32 v0, v20, v64
	v_fmac_f32_e32 v2, v8, v65
	v_fmac_f32_e32 v4, v20, v63
	v_fma_f32 v5, v21, v63, -v0
	v_add_u32_e32 v0, 0x1000, v81
	ds_write2_b64 v0, v[2:3], v[4:5] offset0:82 offset1:181
	s_waitcnt vmcnt(0)
	v_mul_f32_e32 v2, v23, v61
	v_mul_f32_e32 v3, v22, v61
	v_fmac_f32_e32 v2, v22, v60
	v_fma_f32 v3, v23, v60, -v3
	ds_write_b64 v81, v[2:3] offset:6336
	s_waitcnt lgkmcnt(0)
	s_barrier
	ds_read2_b64 v[2:5], v81 offset1:99
	ds_read_b64 v[18:19], v81 offset:6336
	ds_read2_b64 v[6:9], v10 offset0:70 offset1:169
	ds_read2_b64 v[10:13], v0 offset0:82 offset1:181
	;; [unrolled: 1-line block ×3, first 2 shown]
	s_waitcnt lgkmcnt(0)
	v_add_f32_e32 v26, v4, v18
	v_add_f32_e32 v27, v5, v19
	v_sub_f32_e32 v4, v4, v18
	v_sub_f32_e32 v5, v5, v19
	v_mov_b32_e32 v19, v3
	v_add_f32_e32 v36, v6, v12
	v_add_f32_e32 v37, v7, v13
	;; [unrolled: 1-line block ×3, first 2 shown]
	v_sub_f32_e32 v6, v6, v12
	v_sub_f32_e32 v8, v8, v10
	v_mul_f32_e32 v10, 0x3f248dbb, v4
	v_fmac_f32_e32 v19, 0x3f441b7d, v27
	v_add_f32_e32 v39, v9, v11
	v_fmac_f32_e32 v10, 0x3f7c1c5c, v6
	v_fmac_f32_e32 v19, 0x3e31d0d4, v37
	;; [unrolled: 1-line block ×3, first 2 shown]
	v_sub_f32_e32 v12, v14, v16
	v_fmac_f32_e32 v19, -0.5, v39
	v_add_f32_e32 v41, v15, v17
	v_fmac_f32_e32 v10, 0x3eaf1d44, v12
	v_fmac_f32_e32 v19, 0xbf708fb2, v41
	v_sub_f32_e32 v23, v19, v10
	v_add_f32_e32 v19, v37, v27
	v_add_f32_e32 v21, v39, v19
	v_sub_f32_e32 v7, v7, v13
	v_sub_f32_e32 v13, v15, v17
	v_add_f32_e32 v15, v15, v21
	v_mov_b32_e32 v18, v2
	v_add_f32_e32 v15, v17, v15
	v_mov_b32_e32 v17, v3
	v_sub_f32_e32 v9, v9, v11
	v_mul_f32_e32 v11, 0x3f248dbb, v5
	v_fmac_f32_e32 v18, 0x3f441b7d, v26
	v_fma_f32 v25, 2.0, v10, v23
	v_mul_f32_e32 v10, 0xbf248dbb, v12
	v_fmac_f32_e32 v17, 0x3f441b7d, v41
	v_fmac_f32_e32 v11, 0x3f7c1c5c, v7
	;; [unrolled: 1-line block ×6, first 2 shown]
	v_fmac_f32_e32 v18, -0.5, v38
	v_add_f32_e32 v40, v14, v16
	v_fmac_f32_e32 v10, 0xbf5db3d7, v8
	v_fmac_f32_e32 v17, -0.5, v39
	v_fmac_f32_e32 v11, 0x3eaf1d44, v13
	v_fmac_f32_e32 v18, 0xbf708fb2, v40
	;; [unrolled: 1-line block ×4, first 2 shown]
	v_add_f32_e32 v22, v11, v18
	v_add_f32_e32 v18, v36, v26
	v_sub_f32_e32 v29, v17, v10
	v_fma_f32 v35, 2.0, v10, v29
	v_add_f32_e32 v30, v38, v2
	v_add_f32_e32 v10, v40, v18
	v_fmac_f32_e32 v30, -0.5, v10
	v_add_f32_e32 v31, v39, v3
	v_add_f32_e32 v10, v41, v19
	v_fmac_f32_e32 v31, -0.5, v10
	v_add_f32_e32 v10, v13, v5
	v_sub_f32_e32 v10, v10, v7
	v_fmac_f32_e32 v30, 0x3f5db3d7, v10
	v_mul_f32_e32 v10, 0x3f5db3d7, v10
	v_fma_f32 v32, -2.0, v10, v30
	v_add_f32_e32 v10, v12, v4
	v_add_f32_e32 v20, v38, v18
	v_sub_f32_e32 v10, v10, v6
	v_add_f32_e32 v14, v14, v20
	v_fma_f32 v24, -2.0, v11, v22
	v_mul_f32_e32 v11, 0xbf248dbb, v13
	v_fmac_f32_e32 v31, 0xbf5db3d7, v10
	v_mul_f32_e32 v10, 0x3f5db3d7, v10
	v_add_f32_e32 v14, v16, v14
	v_fmac_f32_e32 v11, 0x3f7c1c5c, v5
	v_mov_b32_e32 v16, v2
	v_fma_f32 v33, 2.0, v10, v31
	v_mul_f32_e32 v10, 0x3f7c1c5c, v12
	v_fmac_f32_e32 v11, 0xbf5db3d7, v9
	v_fmac_f32_e32 v16, 0x3f441b7d, v40
	v_fma_f32 v6, v6, s0, -v10
	v_mul_f32_e32 v10, 0x3f7c1c5c, v13
	v_add_f32_e32 v20, v14, v2
	v_add_f32_e32 v21, v15, v3
	v_fmac_f32_e32 v2, 0x3f441b7d, v36
	v_fmac_f32_e32 v3, 0x3f441b7d, v37
	;; [unrolled: 1-line block ×4, first 2 shown]
	v_fma_f32 v7, v7, s0, -v10
	v_fmac_f32_e32 v2, 0x3e31d0d4, v40
	v_fmac_f32_e32 v3, 0x3e31d0d4, v41
	v_fmac_f32_e32 v16, -0.5, v38
	v_fmac_f32_e32 v6, 0x3f5db3d7, v8
	v_fmac_f32_e32 v7, 0x3f5db3d7, v9
	v_fmac_f32_e32 v2, -0.5, v38
	v_fmac_f32_e32 v3, -0.5, v39
	v_fmac_f32_e32 v16, 0xbf708fb2, v36
	v_fmac_f32_e32 v6, 0x3eaf1d44, v4
	;; [unrolled: 1-line block ×5, first 2 shown]
	v_add_f32_e32 v28, v16, v11
	v_add_f32_e32 v36, v7, v2
	v_sub_f32_e32 v37, v3, v6
	v_mul_lo_u16_e32 v2, 9, v82
	s_movk_i32 s0, 0x51
	v_fma_f32 v34, -2.0, v11, v28
	v_fma_f32 v38, -2.0, v7, v36
	v_fma_f32 v39, 2.0, v6, v37
	v_lshl_add_u32 v86, v2, 3, v83
	v_cmp_gt_u16_e64 s[0:1], s0, v82
	s_barrier
	ds_write2_b64 v86, v[20:21], v[22:23] offset1:1
	ds_write2_b64 v86, v[28:29], v[30:31] offset0:2 offset1:3
	ds_write2_b64 v86, v[36:37], v[38:39] offset0:4 offset1:5
	;; [unrolled: 1-line block ×3, first 2 shown]
	ds_write_b64 v86, v[24:25] offset:64
	s_waitcnt lgkmcnt(0)
	s_barrier
	s_waitcnt lgkmcnt(0)
                                        ; implicit-def: $vgpr40
	s_and_saveexec_b64 s[6:7], s[0:1]
	s_cbranch_execz .LBB0_3
; %bb.2:
	ds_read2_b64 v[20:23], v81 offset1:81
	ds_read2_b64 v[28:31], v81 offset0:162 offset1:243
	ds_read2_b64 v[36:39], v1 offset0:68 offset1:149
	v_add_u32_e32 v1, 0xc00, v81
	ds_read2_b64 v[32:35], v1 offset0:102 offset1:183
	ds_read2_b64 v[24:27], v0 offset0:136 offset1:217
	ds_read_b64 v[40:41], v81 offset:6480
.LBB0_3:
	s_or_b64 exec, exec, s[6:7]
	v_mov_b32_e32 v0, 57
	v_mul_lo_u16_sdwa v0, v82, v0 dst_sel:DWORD dst_unused:UNUSED_PAD src0_sel:BYTE_0 src1_sel:DWORD
	v_lshrrev_b16_e32 v84, 9, v0
	v_mul_lo_u16_e32 v0, 9, v84
	v_sub_u16_e32 v85, v82, v0
	v_mov_b32_e32 v0, 10
	v_mul_u32_u24_sdwa v0, v85, v0 dst_sel:DWORD dst_unused:UNUSED_PAD src0_sel:BYTE_0 src1_sel:DWORD
	v_lshlrev_b32_e32 v42, 3, v0
	global_load_dwordx4 v[12:15], v42, s[14:15]
	global_load_dwordx4 v[8:11], v42, s[14:15] offset:16
	global_load_dwordx4 v[0:3], v42, s[14:15] offset:32
	;; [unrolled: 1-line block ×4, first 2 shown]
	s_mov_b32 s12, 0x3f575c64
	s_mov_b32 s16, 0x3ed4b147
	s_mov_b32 s17, 0xbe11bafb
	s_mov_b32 s18, 0xbf27a4f4
	s_mov_b32 s19, 0xbf75a155
	s_waitcnt vmcnt(0) lgkmcnt(0)
	s_barrier
	v_mul_f32_e32 v42, v23, v13
	v_mul_f32_e32 v45, v22, v13
	;; [unrolled: 1-line block ×15, first 2 shown]
	v_fmac_f32_e32 v47, v31, v8
	v_fma_f32 v31, v36, v10, -v57
	v_fmac_f32_e32 v48, v37, v10
	v_fma_f32 v36, v38, v0, -v58
	v_fma_f32 v37, v22, v12, -v42
	v_fmac_f32_e32 v45, v23, v12
	v_fma_f32 v38, v40, v18, -v88
	v_fmac_f32_e32 v56, v41, v18
	v_mul_f32_e32 v79, v35, v5
	v_mul_f32_e32 v52, v24, v7
	v_fma_f32 v53, v28, v14, -v43
	v_fmac_f32_e32 v46, v29, v14
	v_fmac_f32_e32 v51, v35, v4
	v_fma_f32 v35, v26, v16, -v87
	v_fmac_f32_e32 v54, v27, v16
	v_sub_f32_e32 v97, v37, v38
	v_sub_f32_e32 v91, v45, v56
	v_mul_f32_e32 v59, v33, v3
	v_fmac_f32_e32 v52, v25, v6
	v_add_f32_e32 v26, v45, v56
	v_sub_f32_e32 v98, v53, v35
	v_sub_f32_e32 v92, v46, v54
	v_mul_f32_e32 v40, 0xbf0a6770, v91
	v_mul_f32_e32 v88, 0xbf0a6770, v97
	;; [unrolled: 1-line block ×4, first 2 shown]
	v_fma_f32 v55, v30, v8, -v55
	v_fma_f32 v32, v32, v2, -v59
	v_add_f32_e32 v22, v37, v38
	v_add_f32_e32 v27, v46, v54
	v_sub_f32_e32 v94, v47, v52
	v_mul_f32_e32 v59, 0xbf68dda4, v98
	v_mul_f32_e32 v57, 0xbf68dda4, v92
	v_fma_f32 v30, v26, s12, -v88
	v_mov_b32_e32 v42, v40
	v_fmac_f32_e32 v49, v39, v0
	v_fmac_f32_e32 v50, v33, v2
	v_fma_f32 v33, v34, v4, -v79
	v_fma_f32 v34, v24, v6, -v80
	v_add_f32_e32 v23, v53, v35
	v_sub_f32_e32 v93, v48, v51
	v_mul_f32_e32 v58, 0xbf7d64f0, v94
	v_fma_f32 v39, v27, s16, -v59
	v_mov_b32_e32 v43, v57
	v_add_f32_e32 v30, v21, v30
	v_fmac_f32_e32 v42, 0x3f575c64, v22
	v_add_f32_e32 v25, v55, v34
	v_mul_f32_e32 v41, 0xbf4178ce, v93
	v_mov_b32_e32 v80, v58
	v_fmac_f32_e32 v43, 0x3ed4b147, v23
	v_add_f32_e32 v30, v39, v30
	v_add_f32_e32 v39, v20, v42
	v_sub_f32_e32 v96, v55, v34
	v_add_f32_e32 v24, v31, v33
	v_mov_b32_e32 v89, v41
	v_fmac_f32_e32 v80, 0xbe11bafb, v25
	v_add_f32_e32 v39, v43, v39
	v_add_f32_e32 v28, v47, v52
	v_mul_f32_e32 v87, 0xbf7d64f0, v96
	v_fmac_f32_e32 v89, 0xbf27a4f4, v24
	v_add_f32_e32 v39, v80, v39
	v_sub_f32_e32 v103, v31, v33
	v_add_f32_e32 v29, v48, v51
	v_fma_f32 v79, v28, s17, -v87
	v_add_f32_e32 v39, v89, v39
	v_mul_f32_e32 v89, 0xbf4178ce, v103
	v_sub_f32_e32 v101, v49, v50
	v_add_f32_e32 v30, v79, v30
	v_fma_f32 v42, v29, s18, -v89
	v_mul_f32_e32 v90, 0xbe903f40, v101
	v_add_f32_e32 v42, v42, v30
	v_add_f32_e32 v30, v36, v32
	v_mov_b32_e32 v43, v90
	v_fmac_f32_e32 v43, 0xbf75a155, v30
	v_sub_f32_e32 v110, v36, v32
	v_add_f32_e32 v79, v43, v39
	v_add_f32_e32 v39, v49, v50
	v_mul_f32_e32 v95, 0xbe903f40, v110
	v_fma_f32 v43, v39, s19, -v95
	v_mul_f32_e32 v99, 0xbf68dda4, v91
	v_add_f32_e32 v80, v43, v42
	v_mov_b32_e32 v42, v99
	v_mul_f32_e32 v100, 0xbf4178ce, v92
	v_fmac_f32_e32 v42, 0x3ed4b147, v22
	v_mov_b32_e32 v43, v100
	v_add_f32_e32 v42, v20, v42
	v_fmac_f32_e32 v43, 0xbf27a4f4, v23
	v_mul_f32_e32 v106, 0xbf68dda4, v97
	v_add_f32_e32 v42, v43, v42
	v_fma_f32 v43, v26, s16, -v106
	v_mul_f32_e32 v107, 0xbf4178ce, v98
	v_add_f32_e32 v43, v21, v43
	v_fma_f32 v102, v27, s18, -v107
	v_add_f32_e32 v43, v102, v43
	v_mul_f32_e32 v102, 0x3e903f40, v94
	v_mov_b32_e32 v104, v102
	v_fmac_f32_e32 v104, 0xbf75a155, v25
	v_mul_f32_e32 v108, 0x3e903f40, v96
	v_add_f32_e32 v42, v104, v42
	v_fma_f32 v104, v28, s19, -v108
	v_add_f32_e32 v43, v104, v43
	v_mul_f32_e32 v104, 0x3f7d64f0, v93
	v_mov_b32_e32 v105, v104
	v_fmac_f32_e32 v105, 0xbe11bafb, v24
	v_mul_f32_e32 v109, 0x3f7d64f0, v103
	v_add_f32_e32 v42, v105, v42
	v_fma_f32 v105, v29, s17, -v109
	v_add_f32_e32 v43, v105, v43
	v_mul_f32_e32 v105, 0x3f0a6770, v101
	v_mov_b32_e32 v112, v105
	v_mul_f32_e32 v111, 0x3f0a6770, v110
	v_fmac_f32_e32 v112, 0x3f575c64, v30
	v_fma_f32 v113, v39, s12, -v111
	v_add_f32_e32 v42, v112, v42
	v_add_f32_e32 v43, v113, v43
	s_and_saveexec_b64 s[6:7], s[0:1]
	s_cbranch_execz .LBB0_5
; %bb.4:
	v_mul_f32_e32 v132, 0xbe903f40, v97
	v_mov_b32_e32 v112, v132
	v_mul_f32_e32 v133, 0x3f0a6770, v98
	v_fmac_f32_e32 v112, 0xbf75a155, v26
	v_mov_b32_e32 v113, v133
	v_add_f32_e32 v112, v21, v112
	v_fmac_f32_e32 v113, 0x3f575c64, v27
	v_mul_f32_e32 v134, 0xbf4178ce, v96
	v_add_f32_e32 v112, v113, v112
	v_mov_b32_e32 v113, v134
	v_fmac_f32_e32 v113, 0xbf27a4f4, v28
	v_mul_f32_e32 v135, 0x3f68dda4, v103
	v_add_f32_e32 v112, v113, v112
	v_mov_b32_e32 v113, v135
	;; [unrolled: 4-line block ×3, first 2 shown]
	v_fmac_f32_e32 v113, 0xbe11bafb, v39
	v_mul_f32_e32 v137, 0xbe903f40, v91
	v_add_f32_e32 v113, v113, v112
	v_fma_f32 v112, v22, s19, -v137
	v_mul_f32_e32 v138, 0x3f0a6770, v92
	v_add_f32_e32 v112, v20, v112
	v_fma_f32 v114, v23, s12, -v138
	;; [unrolled: 3-line block ×5, first 2 shown]
	v_mul_f32_e32 v142, 0xbf4178ce, v97
	v_add_f32_e32 v112, v114, v112
	v_mov_b32_e32 v114, v142
	v_mul_f32_e32 v143, 0x3f7d64f0, v98
	v_fmac_f32_e32 v114, 0xbf27a4f4, v26
	v_mov_b32_e32 v115, v143
	v_add_f32_e32 v114, v21, v114
	v_fmac_f32_e32 v115, 0xbe11bafb, v27
	v_mul_f32_e32 v144, 0xbf0a6770, v96
	v_add_f32_e32 v114, v115, v114
	v_mov_b32_e32 v115, v144
	v_fmac_f32_e32 v115, 0x3f575c64, v28
	v_mul_f32_e32 v145, 0xbe903f40, v103
	v_add_f32_e32 v114, v115, v114
	v_mov_b32_e32 v115, v145
	v_fmac_f32_e32 v115, 0xbf75a155, v29
	v_mul_f32_e32 v146, 0x3f68dda4, v110
	v_add_f32_e32 v114, v115, v114
	v_mov_b32_e32 v115, v146
	v_fmac_f32_e32 v115, 0x3ed4b147, v39
	v_mul_f32_e32 v147, 0xbf4178ce, v91
	v_add_f32_e32 v115, v115, v114
	v_fma_f32 v114, v22, s18, -v147
	v_mul_f32_e32 v148, 0x3f7d64f0, v92
	v_add_f32_e32 v114, v20, v114
	v_fma_f32 v149, v23, s17, -v148
	v_add_f32_e32 v114, v149, v114
	v_mul_f32_e32 v149, 0xbf0a6770, v94
	v_fma_f32 v150, v25, s12, -v149
	v_add_f32_e32 v114, v150, v114
	v_mul_f32_e32 v150, 0xbe903f40, v93
	v_mul_f32_e32 v116, 0x3f575c64, v22
	v_fma_f32 v151, v24, s19, -v150
	v_mul_f32_e32 v120, 0x3ed4b147, v23
	v_add_f32_e32 v114, v151, v114
	v_mul_f32_e32 v151, 0x3f68dda4, v101
	v_sub_f32_e32 v40, v116, v40
	v_mul_f32_e32 v124, 0xbe11bafb, v25
	v_fma_f32 v152, v30, s16, -v151
	v_add_f32_e32 v40, v20, v40
	v_sub_f32_e32 v57, v120, v57
	v_mul_f32_e32 v128, 0xbf27a4f4, v24
	v_add_f32_e32 v114, v152, v114
	v_mul_f32_e32 v152, 0xbf7d64f0, v97
	v_add_f32_e32 v40, v57, v40
	v_sub_f32_e32 v57, v124, v58
	v_mov_b32_e32 v97, v152
	v_mul_f32_e32 v98, 0x3e903f40, v98
	v_mul_f32_e32 v156, 0xbf75a155, v30
	v_add_f32_e32 v40, v57, v40
	v_sub_f32_e32 v41, v128, v41
	v_fmac_f32_e32 v97, 0xbe11bafb, v26
	v_mov_b32_e32 v153, v98
	v_add_f32_e32 v40, v41, v40
	v_sub_f32_e32 v41, v156, v90
	v_add_f32_e32 v97, v21, v97
	v_fmac_f32_e32 v153, 0xbf75a155, v27
	v_add_f32_e32 v58, v41, v40
	v_add_f32_e32 v40, v21, v45
	;; [unrolled: 1-line block ×4, first 2 shown]
	v_mul_f32_e32 v153, 0x3f68dda4, v96
	v_add_f32_e32 v40, v40, v46
	v_add_f32_e32 v37, v37, v53
	v_mov_b32_e32 v96, v153
	v_mul_f32_e32 v154, 0xbf7d64f0, v91
	v_add_f32_e32 v40, v40, v47
	v_add_f32_e32 v37, v37, v55
	v_fmac_f32_e32 v96, 0x3ed4b147, v28
	v_mul_f32_e32 v103, 0xbf0a6770, v103
	v_fma_f32 v91, v22, s17, -v154
	v_mul_f32_e32 v155, 0x3e903f40, v92
	v_add_f32_e32 v40, v40, v48
	v_add_f32_e32 v31, v37, v31
	;; [unrolled: 1-line block ×3, first 2 shown]
	v_mov_b32_e32 v97, v103
	v_add_f32_e32 v91, v20, v91
	v_fma_f32 v92, v23, s19, -v155
	v_mul_f32_e32 v94, 0x3f68dda4, v94
	v_add_f32_e32 v40, v40, v49
	v_add_f32_e32 v31, v31, v36
	v_fmac_f32_e32 v97, 0x3f575c64, v29
	v_mul_f32_e32 v110, 0xbf4178ce, v110
	v_add_f32_e32 v91, v92, v91
	v_fma_f32 v92, v25, s16, -v94
	v_mul_f32_e32 v93, 0xbf0a6770, v93
	v_add_f32_e32 v40, v40, v50
	v_add_f32_e32 v31, v31, v32
	;; [unrolled: 1-line block ×3, first 2 shown]
	v_mov_b32_e32 v97, v110
	v_add_f32_e32 v91, v92, v91
	v_fma_f32 v92, v24, s12, -v93
	v_mul_f32_e32 v101, 0xbf4178ce, v101
	v_add_f32_e32 v40, v40, v51
	v_add_f32_e32 v31, v31, v33
	v_mul_f32_e32 v119, 0x3ed4b147, v26
	v_fmac_f32_e32 v97, 0xbf27a4f4, v39
	v_add_f32_e32 v91, v92, v91
	v_fma_f32 v92, v30, s18, -v101
	v_add_f32_e32 v40, v40, v52
	v_add_f32_e32 v31, v31, v34
	v_mul_f32_e32 v123, 0xbf27a4f4, v27
	v_add_f32_e32 v97, v97, v96
	v_add_f32_e32 v96, v92, v91
	;; [unrolled: 1-line block ×5, first 2 shown]
	v_mul_f32_e32 v127, 0xbf75a155, v28
	v_add_f32_e32 v92, v107, v123
	v_add_f32_e32 v91, v21, v91
	;; [unrolled: 1-line block ×4, first 2 shown]
	v_fma_f32 v31, v26, s19, -v132
	v_fma_f32 v33, v26, s18, -v142
	v_mul_f32_e32 v131, 0xbe11bafb, v29
	v_add_f32_e32 v91, v92, v91
	v_add_f32_e32 v92, v108, v127
	;; [unrolled: 1-line block ×3, first 2 shown]
	v_fma_f32 v32, v27, s12, -v133
	v_add_f32_e32 v33, v21, v33
	v_fma_f32 v34, v27, s17, -v143
	v_mul_f32_e32 v117, 0x3f575c64, v26
	v_mul_f32_e32 v107, 0x3f575c64, v39
	v_add_f32_e32 v91, v92, v91
	v_add_f32_e32 v92, v109, v131
	v_add_f32_e32 v31, v32, v31
	v_fma_f32 v32, v28, s18, -v134
	v_add_f32_e32 v33, v34, v33
	v_fma_f32 v34, v28, s12, -v144
	v_mul_f32_e32 v118, 0x3ed4b147, v22
	v_mul_f32_e32 v121, 0x3ed4b147, v27
	v_add_f32_e32 v91, v92, v91
	v_add_f32_e32 v92, v111, v107
	;; [unrolled: 1-line block ×4, first 2 shown]
	v_fma_f32 v32, v29, s16, -v135
	v_add_f32_e32 v33, v34, v33
	v_fma_f32 v34, v29, s19, -v145
	v_mul_f32_e32 v122, 0xbf27a4f4, v23
	v_mul_f32_e32 v125, 0xbe11bafb, v28
	v_add_f32_e32 v92, v92, v91
	v_sub_f32_e32 v91, v118, v99
	v_add_f32_e32 v88, v21, v88
	v_add_f32_e32 v59, v59, v121
	;; [unrolled: 1-line block ×3, first 2 shown]
	v_fma_f32 v32, v39, s17, -v136
	v_fmac_f32_e32 v137, 0xbf75a155, v22
	v_add_f32_e32 v33, v34, v33
	v_fma_f32 v34, v39, s16, -v146
	v_fmac_f32_e32 v147, 0xbf27a4f4, v22
	v_fma_f32 v26, v26, s17, -v152
	v_fmac_f32_e32 v154, 0xbe11bafb, v22
	v_mul_f32_e32 v126, 0xbf75a155, v25
	v_mul_f32_e32 v129, 0xbf27a4f4, v29
	v_add_f32_e32 v91, v20, v91
	v_sub_f32_e32 v99, v122, v100
	v_add_f32_e32 v59, v59, v88
	v_add_f32_e32 v87, v87, v125
	;; [unrolled: 1-line block ×4, first 2 shown]
	v_fmac_f32_e32 v138, 0x3f575c64, v23
	v_add_f32_e32 v34, v34, v33
	v_add_f32_e32 v33, v20, v147
	v_fmac_f32_e32 v148, 0xbe11bafb, v23
	v_add_f32_e32 v21, v21, v26
	v_fma_f32 v26, v27, s19, -v98
	v_add_f32_e32 v20, v20, v154
	v_fmac_f32_e32 v155, 0xbf75a155, v23
	v_mul_f32_e32 v130, 0xbe11bafb, v24
	v_mul_f32_e32 v157, 0xbf75a155, v39
	v_add_f32_e32 v91, v99, v91
	v_sub_f32_e32 v99, v126, v102
	v_add_f32_e32 v59, v87, v59
	v_add_f32_e32 v87, v89, v129
	;; [unrolled: 1-line block ×3, first 2 shown]
	v_fmac_f32_e32 v139, 0xbf27a4f4, v25
	v_add_f32_e32 v33, v148, v33
	v_fmac_f32_e32 v149, 0x3f575c64, v25
	v_add_f32_e32 v21, v26, v21
	v_fma_f32 v26, v28, s16, -v153
	v_add_f32_e32 v20, v155, v20
	v_fmac_f32_e32 v94, 0x3ed4b147, v25
	v_mul_u32_u24_e32 v22, 0x63, v84
	v_mul_f32_e32 v106, 0x3f575c64, v30
	v_add_f32_e32 v91, v99, v91
	v_sub_f32_e32 v99, v130, v104
	v_add_f32_e32 v59, v87, v59
	v_add_f32_e32 v87, v95, v157
	;; [unrolled: 1-line block ×3, first 2 shown]
	v_fmac_f32_e32 v140, 0x3ed4b147, v24
	v_add_f32_e32 v33, v149, v33
	v_fmac_f32_e32 v150, 0xbf75a155, v24
	v_add_f32_e32 v21, v26, v21
	v_fma_f32 v26, v29, s12, -v103
	v_add_f32_e32 v20, v94, v20
	v_fmac_f32_e32 v93, 0x3f575c64, v24
	v_add_u32_sdwa v22, v22, v85 dst_sel:DWORD dst_unused:UNUSED_PAD src0_sel:DWORD src1_sel:BYTE_0
	v_add_f32_e32 v91, v99, v91
	v_sub_f32_e32 v99, v106, v105
	v_add_f32_e32 v59, v87, v59
	v_add_f32_e32 v31, v140, v31
	v_fmac_f32_e32 v141, 0xbe11bafb, v30
	v_add_f32_e32 v33, v150, v33
	v_fmac_f32_e32 v151, 0x3ed4b147, v30
	v_add_f32_e32 v21, v26, v21
	v_fma_f32 v26, v39, s18, -v110
	v_add_f32_e32 v20, v93, v20
	v_fmac_f32_e32 v101, 0xbf27a4f4, v30
	v_lshl_add_u32 v22, v22, 3, v83
	v_add_f32_e32 v91, v99, v91
	v_add_f32_e32 v31, v141, v31
	;; [unrolled: 1-line block ×5, first 2 shown]
	ds_write2_b64 v22, v[40:41], v[58:59] offset1:9
	ds_write2_b64 v22, v[91:92], v[96:97] offset0:18 offset1:27
	ds_write2_b64 v22, v[114:115], v[112:113] offset0:36 offset1:45
	;; [unrolled: 1-line block ×4, first 2 shown]
	ds_write_b64 v22, v[79:80] offset:720
.LBB0_5:
	s_or_b64 exec, exec, s[6:7]
	v_add_co_u32_e32 v50, vcc, 0xc6, v82
	s_mov_b32 s6, 0xa57f
	v_mul_u32_u24_sdwa v24, v50, s6 dst_sel:DWORD dst_unused:UNUSED_PAD src0_sel:WORD_0 src1_sel:DWORD
	v_lshlrev_b32_e32 v49, 4, v82
	v_lshrrev_b32_e32 v24, 22, v24
	s_waitcnt lgkmcnt(0)
	s_barrier
	global_load_dwordx4 v[20:23], v49, s[14:15] offset:720
	v_mul_lo_u16_e32 v24, 0x63, v24
	v_sub_u16_e32 v51, v50, v24
	v_lshlrev_b16_e32 v24, 4, v51
	v_mov_b32_e32 v25, s15
	v_add_co_u32_e32 v24, vcc, s14, v24
	v_addc_co_u32_e32 v25, vcc, 0, v25, vcc
	global_load_dwordx4 v[24:27], v[24:25], off offset:720
	v_add_u32_e32 v105, 0x400, v81
	v_add_u32_e32 v89, 0x1000, v81
	ds_read2_b64 v[32:35], v105 offset0:70 offset1:169
	ds_read2_b64 v[28:31], v81 offset1:99
	v_add_u32_e32 v90, 0x800, v81
	ds_read2_b64 v[36:39], v89 offset0:82 offset1:181
	ds_read_b64 v[40:41], v81 offset:6336
	ds_read2_b64 v[45:48], v90 offset0:140 offset1:239
	s_waitcnt vmcnt(0) lgkmcnt(0)
	s_barrier
	s_movk_i32 s6, 0x1000
	v_mul_f32_e32 v52, v35, v21
	v_mul_f32_e32 v53, v34, v21
	;; [unrolled: 1-line block ×6, first 2 shown]
	v_fma_f32 v34, v34, v20, -v52
	v_fmac_f32_e32 v53, v35, v20
	v_fma_f32 v35, v36, v22, -v54
	v_fmac_f32_e32 v55, v37, v22
	v_mul_f32_e32 v56, v46, v21
	v_mul_f32_e32 v58, v39, v23
	v_fmac_f32_e32 v57, v46, v20
	v_fmac_f32_e32 v59, v39, v22
	v_add_f32_e32 v39, v34, v35
	v_add_f32_e32 v46, v53, v55
	v_fma_f32 v36, v45, v20, -v56
	v_fma_f32 v37, v38, v22, -v58
	v_add_f32_e32 v38, v28, v34
	v_add_f32_e32 v45, v29, v53
	v_fma_f32 v28, -0.5, v39, v28
	v_fma_f32 v29, -0.5, v46, v29
	v_sub_f32_e32 v52, v53, v55
	v_sub_f32_e32 v53, v34, v35
	v_add_f32_e32 v54, v30, v36
	v_add_f32_e32 v34, v38, v35
	v_mov_b32_e32 v38, v28
	v_mov_b32_e32 v39, v29
	v_add_f32_e32 v56, v36, v37
	v_sub_f32_e32 v88, v36, v37
	v_add_f32_e32 v35, v45, v55
	v_add_f32_e32 v36, v54, v37
	v_fmac_f32_e32 v28, 0xbf5db3d7, v52
	v_fmac_f32_e32 v29, 0x3f5db3d7, v53
	;; [unrolled: 1-line block ×4, first 2 shown]
	v_mul_f32_e32 v52, v48, v25
	v_mul_f32_e32 v53, v47, v25
	;; [unrolled: 1-line block ×4, first 2 shown]
	v_fma_f32 v52, v47, v24, -v52
	v_fmac_f32_e32 v53, v48, v24
	v_fma_f32 v48, v40, v26, -v54
	v_fmac_f32_e32 v55, v41, v26
	v_sub_f32_e32 v58, v57, v59
	v_add_f32_e32 v87, v31, v57
	v_add_f32_e32 v57, v57, v59
	;; [unrolled: 1-line block ×3, first 2 shown]
	v_sub_f32_e32 v54, v53, v55
	v_add_f32_e32 v47, v33, v53
	v_add_f32_e32 v53, v53, v55
	v_fma_f32 v30, -0.5, v56, v30
	v_fmac_f32_e32 v31, -0.5, v57
	v_add_f32_e32 v40, v32, v52
	v_fma_f32 v32, -0.5, v41, v32
	v_fmac_f32_e32 v33, -0.5, v53
	v_add_f32_e32 v37, v87, v59
	v_mov_b32_e32 v45, v30
	v_mov_b32_e32 v46, v31
	v_add_f32_e32 v40, v40, v48
	v_add_f32_e32 v41, v47, v55
	v_mov_b32_e32 v47, v32
	v_sub_f32_e32 v52, v52, v48
	v_mov_b32_e32 v48, v33
	v_lshl_add_u32 v87, v51, 3, v83
	v_fmac_f32_e32 v30, 0xbf5db3d7, v58
	v_fmac_f32_e32 v31, 0x3f5db3d7, v88
	;; [unrolled: 1-line block ×7, first 2 shown]
	ds_write2_b64 v81, v[34:35], v[38:39] offset1:99
	ds_write2_b64 v105, v[28:29], v[36:37] offset0:70 offset1:169
	ds_write2_b64 v90, v[45:46], v[30:31] offset0:140 offset1:239
	v_add_u32_e32 v28, 0x1000, v87
	v_fmac_f32_e32 v33, 0x3f5db3d7, v52
	ds_write2_b64 v28, v[40:41], v[47:48] offset0:82 offset1:181
	ds_write_b64 v87, v[32:33] offset:6336
	s_waitcnt lgkmcnt(0)
	s_barrier
	global_load_dwordx4 v[28:31], v49, s[14:15] offset:2304
	v_add_u32_e32 v32, 0x630, v49
	v_lshlrev_b32_e32 v36, 4, v50
	global_load_dwordx4 v[32:35], v32, s[14:15] offset:2304
	v_mov_b32_e32 v40, s13
	global_load_dwordx4 v[36:39], v36, s[14:15] offset:2304
	v_addc_co_u32_e64 v95, vcc, 0, v40, s[2:3]
	ds_read2_b64 v[45:48], v105 offset0:70 offset1:169
	ds_read2_b64 v[49:52], v81 offset1:99
	ds_read2_b64 v[53:56], v89 offset0:82 offset1:181
	ds_read2_b64 v[91:94], v90 offset0:140 offset1:239
	ds_read_b64 v[40:41], v81 offset:6336
	s_movk_i32 s2, 0x1bd8
	s_waitcnt vmcnt(2) lgkmcnt(4)
	v_mul_f32_e32 v57, v48, v29
	v_mul_f32_e32 v58, v47, v29
	s_waitcnt lgkmcnt(2)
	v_mul_f32_e32 v88, v53, v31
	v_mul_f32_e32 v59, v54, v31
	s_waitcnt vmcnt(1) lgkmcnt(1)
	v_mul_f32_e32 v96, v92, v33
	v_mul_f32_e32 v97, v91, v33
	s_waitcnt vmcnt(0) lgkmcnt(0)
	v_mul_f32_e32 v102, v41, v39
	v_fma_f32 v47, v47, v28, -v57
	v_fmac_f32_e32 v58, v48, v28
	v_fmac_f32_e32 v88, v54, v30
	v_mul_f32_e32 v98, v56, v35
	v_mul_f32_e32 v99, v55, v35
	;; [unrolled: 1-line block ×3, first 2 shown]
	v_fma_f32 v48, v53, v30, -v59
	v_fma_f32 v53, v91, v32, -v96
	v_fmac_f32_e32 v97, v92, v32
	v_fma_f32 v92, v40, v38, -v102
	v_add_f32_e32 v40, v49, v47
	v_add_f32_e32 v57, v58, v88
	v_mul_f32_e32 v100, v94, v37
	v_fma_f32 v54, v55, v34, -v98
	v_fmac_f32_e32 v99, v56, v34
	v_fmac_f32_e32 v103, v41, v38
	v_add_f32_e32 v41, v47, v48
	v_sub_f32_e32 v56, v58, v88
	v_add_f32_e32 v55, v50, v58
	v_sub_f32_e32 v58, v47, v48
	v_add_f32_e32 v91, v51, v53
	v_add_f32_e32 v40, v40, v48
	v_fma_f32 v48, -0.5, v57, v50
	v_mul_f32_e32 v101, v93, v37
	v_fma_f32 v59, v93, v36, -v100
	v_add_f32_e32 v93, v53, v54
	v_sub_f32_e32 v98, v53, v54
	v_fma_f32 v47, -0.5, v41, v49
	v_add_f32_e32 v49, v91, v54
	v_mov_b32_e32 v54, v48
	v_fmac_f32_e32 v48, 0x3f5db3d7, v58
	v_fmac_f32_e32 v54, 0xbf5db3d7, v58
	v_add_f32_e32 v58, v59, v92
	v_fmac_f32_e32 v101, v94, v36
	v_sub_f32_e32 v94, v97, v99
	v_add_f32_e32 v96, v52, v97
	v_add_f32_e32 v97, v97, v99
	v_mov_b32_e32 v53, v47
	v_add_f32_e32 v57, v45, v59
	v_fma_f32 v45, -0.5, v58, v45
	v_add_f32_e32 v41, v55, v88
	v_fma_f32 v51, -0.5, v93, v51
	v_fmac_f32_e32 v52, -0.5, v97
	v_fmac_f32_e32 v53, 0x3f5db3d7, v56
	v_sub_f32_e32 v58, v101, v103
	v_mov_b32_e32 v91, v45
	v_add_f32_e32 v88, v101, v103
	v_add_f32_e32 v50, v96, v99
	v_fmac_f32_e32 v47, 0xbf5db3d7, v56
	v_mov_b32_e32 v55, v51
	v_mov_b32_e32 v56, v52
	v_fmac_f32_e32 v91, 0x3f5db3d7, v58
	v_fmac_f32_e32 v45, 0xbf5db3d7, v58
	v_add_f32_e32 v58, v46, v101
	v_fmac_f32_e32 v46, -0.5, v88
	ds_write_b64 v81, v[53:54] offset:2376
	ds_write_b64 v81, v[47:48] offset:4752
	ds_write2_b64 v81, v[40:41], v[49:50] offset1:99
	v_add_co_u32_e32 v40, vcc, s6, v44
	v_fmac_f32_e32 v55, 0x3f5db3d7, v94
	v_fmac_f32_e32 v56, 0xbf5db3d7, v98
	v_add_f32_e32 v57, v57, v92
	v_sub_f32_e32 v59, v59, v92
	v_mov_b32_e32 v92, v46
	v_lshl_add_u32 v88, v82, 3, v83
	v_addc_co_u32_e32 v41, vcc, 0, v95, vcc
	v_fmac_f32_e32 v51, 0xbf5db3d7, v94
	v_fmac_f32_e32 v52, 0x3f5db3d7, v98
	v_add_f32_e32 v58, v58, v103
	v_fmac_f32_e32 v92, 0xbf5db3d7, v59
	v_fmac_f32_e32 v46, 0x3f5db3d7, v59
	ds_write_b64 v88, v[55:56] offset:3168
	ds_write_b64 v88, v[51:52] offset:5544
	;; [unrolled: 1-line block ×5, first 2 shown]
	s_waitcnt lgkmcnt(0)
	s_barrier
	global_load_dwordx2 v[40:41], v[40:41], off offset:3032
	v_add_co_u32_e32 v45, vcc, s2, v44
	v_addc_co_u32_e32 v46, vcc, 0, v95, vcc
	global_load_dwordx2 v[56:57], v[45:46], off offset:792
	global_load_dwordx2 v[58:59], v[45:46], off offset:1584
	;; [unrolled: 1-line block ×4, first 2 shown]
	s_movk_i32 s2, 0x2000
	v_add_co_u32_e32 v47, vcc, s2, v44
	v_addc_co_u32_e32 v48, vcc, 0, v95, vcc
	s_movk_i32 s2, 0x3000
	v_add_co_u32_e32 v49, vcc, s2, v44
	v_addc_co_u32_e32 v50, vcc, 0, v95, vcc
	global_load_dwordx2 v[95:96], v[47:48], off offset:3688
	global_load_dwordx2 v[97:98], v[49:50], off offset:384
	;; [unrolled: 1-line block ×4, first 2 shown]
	ds_read2_b64 v[44:47], v81 offset1:99
	ds_read2_b64 v[48:51], v105 offset0:70 offset1:169
	ds_read2_b64 v[52:55], v90 offset0:140 offset1:239
	s_mov_b32 s2, 0xbf248dbb
	s_waitcnt vmcnt(8) lgkmcnt(2)
	v_mul_f32_e32 v103, v45, v41
	v_mul_f32_e32 v104, v44, v41
	s_waitcnt vmcnt(7)
	v_mul_f32_e32 v106, v47, v57
	v_mul_f32_e32 v41, v46, v57
	s_waitcnt vmcnt(6) lgkmcnt(1)
	v_mul_f32_e32 v107, v49, v59
	v_mul_f32_e32 v57, v48, v59
	s_waitcnt vmcnt(5)
	v_mul_f32_e32 v108, v51, v92
	v_mul_f32_e32 v59, v50, v92
	v_fma_f32 v103, v44, v40, -v103
	v_fmac_f32_e32 v104, v45, v40
	v_fma_f32 v40, v46, v56, -v106
	v_fmac_f32_e32 v41, v47, v56
	;; [unrolled: 2-line block ×4, first 2 shown]
	ds_write2_b64 v81, v[103:104], v[40:41] offset1:99
	ds_write2_b64 v105, v[56:57], v[58:59] offset0:70 offset1:169
	ds_read2_b64 v[44:47], v89 offset0:82 offset1:181
	s_waitcnt vmcnt(4) lgkmcnt(3)
	v_mul_f32_e32 v109, v53, v94
	v_mul_f32_e32 v92, v52, v94
	s_waitcnt vmcnt(1)
	v_mul_f32_e32 v40, v55, v100
	v_mul_f32_e32 v41, v54, v100
	v_fma_f32 v91, v52, v93, -v109
	v_fmac_f32_e32 v92, v53, v93
	v_fma_f32 v40, v54, v99, -v40
	v_fmac_f32_e32 v41, v55, v99
	ds_write2_b64 v90, v[91:92], v[40:41] offset0:140 offset1:239
	s_waitcnt lgkmcnt(1)
	v_mul_f32_e32 v40, v45, v96
	v_mul_f32_e32 v41, v44, v96
	v_fma_f32 v40, v44, v95, -v40
	v_fmac_f32_e32 v41, v45, v95
	ds_read_b64 v[44:45], v81 offset:6336
	v_mul_f32_e32 v48, v47, v98
	v_mul_f32_e32 v49, v46, v98
	v_fma_f32 v48, v46, v97, -v48
	v_fmac_f32_e32 v49, v47, v97
	ds_write2_b64 v89, v[40:41], v[48:49] offset0:82 offset1:181
	s_waitcnt vmcnt(0) lgkmcnt(1)
	v_mul_f32_e32 v40, v45, v102
	v_mul_f32_e32 v41, v44, v102
	v_fma_f32 v40, v44, v101, -v40
	v_fmac_f32_e32 v41, v45, v101
	ds_write_b64 v81, v[40:41] offset:6336
	s_waitcnt lgkmcnt(0)
	s_barrier
	ds_read2_b64 v[56:59], v81 offset1:99
	ds_read_b64 v[40:41], v81 offset:6336
	ds_read2_b64 v[44:47], v105 offset0:70 offset1:169
	ds_read2_b64 v[48:51], v89 offset0:82 offset1:181
	;; [unrolled: 1-line block ×3, first 2 shown]
	s_waitcnt lgkmcnt(0)
	v_add_f32_e32 v95, v58, v40
	v_add_f32_e32 v96, v59, v41
	;; [unrolled: 1-line block ×4, first 2 shown]
	v_sub_f32_e32 v44, v44, v50
	v_sub_f32_e32 v45, v45, v51
	;; [unrolled: 1-line block ×4, first 2 shown]
	v_add_f32_e32 v105, v91, v93
	v_add_f32_e32 v106, v92, v94
	v_mov_b32_e32 v50, v56
	v_mov_b32_e32 v51, v57
	v_add_f32_e32 v99, v46, v48
	v_add_f32_e32 v100, v47, v49
	v_sub_f32_e32 v58, v58, v40
	v_sub_f32_e32 v59, v59, v41
	;; [unrolled: 1-line block ×4, first 2 shown]
	v_mul_f32_e32 v48, 0xbf248dbb, v103
	v_mul_f32_e32 v49, 0xbf248dbb, v104
	v_fmac_f32_e32 v50, 0x3f441b7d, v105
	v_fmac_f32_e32 v51, 0x3f441b7d, v106
	;; [unrolled: 1-line block ×6, first 2 shown]
	v_mul_f32_e32 v41, 0x3f248dbb, v58
	v_mul_f32_e32 v40, 0x3f248dbb, v59
	v_fmac_f32_e32 v48, 0xbf5db3d7, v101
	v_fmac_f32_e32 v49, 0xbf5db3d7, v102
	v_fmac_f32_e32 v50, -0.5, v99
	v_fmac_f32_e32 v51, -0.5, v100
	v_fmac_f32_e32 v41, 0x3f7c1c5c, v44
	v_fmac_f32_e32 v40, 0x3f7c1c5c, v45
	;; [unrolled: 1-line block ×8, first 2 shown]
	v_sub_f32_e32 v52, v50, v49
	v_add_f32_e32 v53, v48, v51
	v_fmac_f32_e32 v41, 0x3eaf1d44, v103
	v_fmac_f32_e32 v40, 0x3eaf1d44, v104
	v_fma_f32 v50, 2.0, v49, v52
	v_fma_f32 v51, -2.0, v48, v53
	v_add_f32_e32 v48, v103, v58
	v_add_f32_e32 v49, v104, v59
	;; [unrolled: 1-line block ×4, first 2 shown]
	v_mul_f32_e32 v103, 0x3f7c1c5c, v103
	v_mul_f32_e32 v104, 0x3f7c1c5c, v104
	v_sub_f32_e32 v48, v48, v44
	v_sub_f32_e32 v49, v49, v45
	v_fma_f32 v103, v44, s2, -v103
	v_fma_f32 v104, v45, s2, -v104
	v_add_f32_e32 v44, v99, v109
	v_add_f32_e32 v45, v100, v110
	v_add_f32_e32 v44, v91, v44
	v_add_f32_e32 v45, v92, v45
	v_mov_b32_e32 v46, v56
	v_mov_b32_e32 v47, v57
	v_add_f32_e32 v44, v93, v44
	v_add_f32_e32 v45, v94, v45
	v_fmac_f32_e32 v46, 0x3f441b7d, v95
	v_fmac_f32_e32 v47, 0x3f441b7d, v96
	v_add_f32_e32 v54, v99, v56
	v_add_f32_e32 v55, v100, v57
	;; [unrolled: 1-line block ×4, first 2 shown]
	v_fmac_f32_e32 v56, 0x3f441b7d, v97
	v_fmac_f32_e32 v57, 0x3f441b7d, v98
	;; [unrolled: 1-line block ×6, first 2 shown]
	v_fmac_f32_e32 v46, -0.5, v99
	v_fmac_f32_e32 v47, -0.5, v100
	v_add_f32_e32 v111, v105, v109
	v_add_f32_e32 v112, v106, v110
	v_fmac_f32_e32 v103, 0x3f5db3d7, v101
	v_fmac_f32_e32 v104, 0x3f5db3d7, v102
	v_fmac_f32_e32 v56, -0.5, v99
	v_fmac_f32_e32 v57, -0.5, v100
	v_fmac_f32_e32 v46, 0xbf708fb2, v105
	v_fmac_f32_e32 v47, 0xbf708fb2, v106
	v_fmac_f32_e32 v54, -0.5, v111
	v_fmac_f32_e32 v55, -0.5, v112
	v_fmac_f32_e32 v103, 0x3eaf1d44, v58
	v_fmac_f32_e32 v104, 0x3eaf1d44, v59
	;; [unrolled: 1-line block ×4, first 2 shown]
	v_sub_f32_e32 v46, v46, v40
	v_add_f32_e32 v47, v41, v47
	v_mul_f32_e32 v107, 0x3f5db3d7, v48
	v_mul_f32_e32 v108, 0x3f5db3d7, v49
	v_fmac_f32_e32 v54, 0xbf5db3d7, v49
	v_fmac_f32_e32 v55, 0x3f5db3d7, v48
	v_sub_f32_e32 v56, v56, v104
	v_add_f32_e32 v57, v103, v57
	v_fma_f32 v40, 2.0, v40, v46
	v_fma_f32 v41, -2.0, v41, v47
	v_fma_f32 v48, 2.0, v108, v54
	v_fma_f32 v49, -2.0, v107, v55
	;; [unrolled: 2-line block ×3, first 2 shown]
	s_barrier
	ds_write2_b64 v86, v[44:45], v[46:47] offset1:1
	ds_write2_b64 v86, v[52:53], v[54:55] offset0:2 offset1:3
	ds_write2_b64 v86, v[56:57], v[58:59] offset0:4 offset1:5
	;; [unrolled: 1-line block ×3, first 2 shown]
	ds_write_b64 v86, v[40:41] offset:64
	s_waitcnt lgkmcnt(0)
	s_barrier
	s_and_saveexec_b64 s[2:3], s[0:1]
	s_cbranch_execz .LBB0_7
; %bb.6:
	v_add_u32_e32 v40, 0xc00, v81
	ds_read2_b64 v[44:47], v81 offset1:81
	ds_read2_b64 v[52:55], v81 offset0:162 offset1:243
	ds_read2_b64 v[56:59], v90 offset0:68 offset1:149
	;; [unrolled: 1-line block ×4, first 2 shown]
	ds_read_b64 v[79:80], v81 offset:6480
.LBB0_7:
	s_or_b64 exec, exec, s[2:3]
	v_add_u32_e32 v86, 0x630, v81
	s_waitcnt lgkmcnt(0)
	s_barrier
	s_and_saveexec_b64 s[2:3], s[0:1]
	s_cbranch_execz .LBB0_9
; %bb.8:
	v_mul_f32_e32 v89, v19, v79
	v_mul_f32_e32 v90, v13, v46
	;; [unrolled: 1-line block ×3, first 2 shown]
	v_fma_f32 v89, v18, v80, -v89
	v_fma_f32 v90, v12, v47, -v90
	v_fmac_f32_e32 v13, v12, v46
	v_mul_f32_e32 v12, v19, v80
	v_mul_f32_e32 v19, v17, v42
	;; [unrolled: 1-line block ×3, first 2 shown]
	v_add_f32_e32 v91, v89, v90
	v_fma_f32 v19, v16, v43, -v19
	v_fma_f32 v47, v14, v53, -v47
	v_mul_f32_e32 v15, v15, v53
	v_mul_f32_e32 v92, 0xbf75a155, v91
	v_fmac_f32_e32 v12, v18, v79
	v_add_f32_e32 v79, v19, v47
	v_fmac_f32_e32 v15, v14, v52
	v_mul_f32_e32 v14, v17, v43
	v_sub_f32_e32 v46, v13, v12
	v_mov_b32_e32 v18, v92
	v_mul_f32_e32 v80, 0x3f575c64, v79
	v_fmac_f32_e32 v14, v16, v42
	v_fmac_f32_e32 v18, 0x3e903f40, v46
	v_sub_f32_e32 v42, v15, v14
	v_mov_b32_e32 v16, v80
	v_add_f32_e32 v18, v45, v18
	v_fmac_f32_e32 v16, 0xbf0a6770, v42
	v_add_f32_e32 v16, v16, v18
	v_mul_f32_e32 v17, v7, v40
	v_mul_f32_e32 v18, v9, v54
	v_fma_f32 v17, v6, v41, -v17
	v_fma_f32 v18, v8, v55, -v18
	v_add_f32_e32 v43, v17, v18
	v_mul_f32_e32 v53, v9, v55
	v_mul_f32_e32 v41, v7, v41
	;; [unrolled: 1-line block ×3, first 2 shown]
	v_fmac_f32_e32 v53, v8, v54
	v_fmac_f32_e32 v41, v6, v40
	v_sub_f32_e32 v40, v53, v41
	v_mov_b32_e32 v6, v52
	v_fmac_f32_e32 v6, 0x3f4178ce, v40
	v_mul_f32_e32 v7, v5, v50
	v_add_f32_e32 v6, v6, v16
	v_fma_f32 v16, v4, v51, -v7
	v_mul_f32_e32 v7, v11, v56
	v_fma_f32 v54, v10, v57, -v7
	v_mul_f32_e32 v57, v11, v57
	v_fmac_f32_e32 v57, v10, v56
	v_mul_f32_e32 v10, v5, v51
	v_mul_f32_e32 v5, v3, v48
	v_fma_f32 v11, v2, v49, -v5
	v_mul_f32_e32 v5, v1, v58
	v_add_f32_e32 v8, v16, v54
	v_fma_f32 v51, v0, v59, -v5
	v_mul_f32_e32 v55, 0x3ed4b147, v8
	v_fmac_f32_e32 v10, v4, v50
	v_add_f32_e32 v9, v11, v51
	v_mul_f32_e32 v59, v1, v59
	v_mul_f32_e32 v49, v3, v49
	v_sub_f32_e32 v50, v57, v10
	v_mov_b32_e32 v4, v55
	v_mul_f32_e32 v56, 0xbe11bafb, v9
	v_fmac_f32_e32 v59, v0, v58
	v_fmac_f32_e32 v49, v2, v48
	;; [unrolled: 1-line block ×3, first 2 shown]
	v_sub_f32_e32 v48, v59, v49
	v_mov_b32_e32 v0, v56
	v_sub_f32_e32 v93, v90, v89
	v_add_f32_e32 v4, v4, v6
	v_fmac_f32_e32 v0, 0x3f7d64f0, v48
	v_mul_f32_e32 v94, 0xbe903f40, v93
	v_sub_f32_e32 v96, v47, v19
	v_add_f32_e32 v1, v0, v4
	v_add_f32_e32 v58, v12, v13
	v_mov_b32_e32 v0, v94
	v_mul_f32_e32 v97, 0x3f0a6770, v96
	v_fmac_f32_e32 v0, 0xbf75a155, v58
	v_add_f32_e32 v95, v14, v15
	v_mov_b32_e32 v2, v97
	v_sub_f32_e32 v99, v18, v17
	v_add_f32_e32 v0, v44, v0
	v_fmac_f32_e32 v2, 0x3f575c64, v95
	v_mul_f32_e32 v100, 0xbf4178ce, v99
	v_add_f32_e32 v0, v2, v0
	v_add_f32_e32 v98, v41, v53
	v_mov_b32_e32 v2, v100
	v_sub_f32_e32 v102, v54, v16
	v_fmac_f32_e32 v2, 0xbf27a4f4, v98
	v_mul_f32_e32 v103, 0x3f68dda4, v102
	v_add_f32_e32 v0, v2, v0
	v_add_f32_e32 v101, v10, v57
	v_mov_b32_e32 v2, v103
	v_sub_f32_e32 v105, v51, v11
	v_fmac_f32_e32 v2, 0x3ed4b147, v101
	v_mul_f32_e32 v106, 0xbf7d64f0, v105
	v_add_f32_e32 v0, v2, v0
	v_add_f32_e32 v104, v49, v59
	v_mov_b32_e32 v2, v106
	v_fmac_f32_e32 v2, 0xbe11bafb, v104
	v_mul_f32_e32 v107, 0xbf27a4f4, v91
	v_add_f32_e32 v0, v2, v0
	v_mov_b32_e32 v2, v107
	v_mul_f32_e32 v108, 0xbe11bafb, v79
	v_fmac_f32_e32 v2, 0x3f4178ce, v46
	v_mov_b32_e32 v3, v108
	v_add_f32_e32 v2, v45, v2
	v_fmac_f32_e32 v3, 0xbf7d64f0, v42
	v_mul_f32_e32 v109, 0x3f575c64, v43
	v_add_f32_e32 v2, v3, v2
	v_mov_b32_e32 v3, v109
	v_fmac_f32_e32 v3, 0x3f0a6770, v40
	v_mul_f32_e32 v110, 0xbf75a155, v8
	v_add_f32_e32 v2, v3, v2
	v_mov_b32_e32 v3, v110
	;; [unrolled: 4-line block ×4, first 2 shown]
	v_mul_f32_e32 v113, 0x3f7d64f0, v96
	v_fmac_f32_e32 v2, 0xbf27a4f4, v58
	v_mov_b32_e32 v4, v113
	v_add_f32_e32 v2, v44, v2
	v_fmac_f32_e32 v4, 0xbe11bafb, v95
	v_mul_f32_e32 v114, 0xbf0a6770, v99
	v_add_f32_e32 v2, v4, v2
	v_mov_b32_e32 v4, v114
	v_fmac_f32_e32 v4, 0x3f575c64, v98
	v_mul_f32_e32 v115, 0xbe903f40, v102
	v_add_f32_e32 v2, v4, v2
	v_mov_b32_e32 v4, v115
	;; [unrolled: 4-line block ×4, first 2 shown]
	v_mul_f32_e32 v118, 0xbf75a155, v79
	v_fmac_f32_e32 v4, 0x3f7d64f0, v46
	v_mov_b32_e32 v5, v118
	v_add_f32_e32 v4, v45, v4
	v_fmac_f32_e32 v5, 0xbe903f40, v42
	v_mul_f32_e32 v119, 0x3ed4b147, v43
	v_add_f32_e32 v4, v5, v4
	v_mov_b32_e32 v5, v119
	v_add_f32_e32 v13, v44, v13
	v_fmac_f32_e32 v5, 0xbf68dda4, v40
	v_mul_f32_e32 v120, 0x3f575c64, v8
	v_add_f32_e32 v13, v15, v13
	v_add_f32_e32 v4, v5, v4
	v_mov_b32_e32 v5, v120
	v_add_f32_e32 v13, v53, v13
	v_fmac_f32_e32 v5, 0x3f0a6770, v50
	v_mul_f32_e32 v121, 0xbf27a4f4, v9
	v_add_f32_e32 v13, v57, v13
	v_add_f32_e32 v4, v5, v4
	v_mov_b32_e32 v5, v121
	v_add_f32_e32 v13, v59, v13
	v_fmac_f32_e32 v5, 0x3f4178ce, v48
	v_mul_f32_e32 v122, 0xbf7d64f0, v93
	v_add_f32_e32 v13, v49, v13
	v_add_f32_e32 v5, v5, v4
	v_mov_b32_e32 v4, v122
	v_mul_f32_e32 v123, 0x3e903f40, v96
	v_add_f32_e32 v10, v10, v13
	v_fmac_f32_e32 v4, 0xbe11bafb, v58
	v_mov_b32_e32 v6, v123
	v_add_f32_e32 v10, v41, v10
	v_add_f32_e32 v4, v44, v4
	v_fmac_f32_e32 v6, 0xbf75a155, v95
	v_mul_f32_e32 v124, 0x3f68dda4, v99
	v_add_f32_e32 v10, v14, v10
	v_fmac_f32_e32 v92, 0xbe903f40, v46
	v_add_f32_e32 v4, v6, v4
	v_mov_b32_e32 v6, v124
	v_add_f32_e32 v10, v12, v10
	v_add_f32_e32 v12, v45, v92
	v_fmac_f32_e32 v80, 0x3f0a6770, v42
	v_fmac_f32_e32 v6, 0x3ed4b147, v98
	v_mul_f32_e32 v125, 0xbf0a6770, v102
	v_add_f32_e32 v12, v80, v12
	v_fmac_f32_e32 v52, 0xbf4178ce, v40
	v_add_f32_e32 v4, v6, v4
	v_mov_b32_e32 v6, v125
	v_add_f32_e32 v12, v52, v12
	v_fmac_f32_e32 v55, 0x3f68dda4, v50
	s_mov_b32 s0, 0xbf75a155
	v_fmac_f32_e32 v6, 0x3f575c64, v101
	v_mul_f32_e32 v126, 0xbf4178ce, v105
	v_add_f32_e32 v12, v55, v12
	v_fmac_f32_e32 v56, 0xbf7d64f0, v48
	s_mov_b32 s1, 0x3f575c64
	v_add_f32_e32 v4, v6, v4
	v_mov_b32_e32 v6, v126
	v_add_f32_e32 v13, v56, v12
	v_fma_f32 v12, v58, s0, -v94
	s_mov_b32 s6, 0xbf27a4f4
	v_fmac_f32_e32 v6, 0xbf27a4f4, v104
	v_mul_f32_e32 v127, 0x3ed4b147, v91
	v_add_f32_e32 v12, v44, v12
	v_fma_f32 v14, v95, s1, -v97
	s_mov_b32 s7, 0x3ed4b147
	v_add_f32_e32 v4, v6, v4
	v_mov_b32_e32 v6, v127
	v_mul_f32_e32 v128, 0xbf27a4f4, v79
	v_add_f32_e32 v12, v14, v12
	v_fma_f32 v14, v98, s6, -v100
	s_mov_b32 s12, 0xbe11bafb
	v_fmac_f32_e32 v6, 0x3f68dda4, v46
	v_mov_b32_e32 v7, v128
	v_add_f32_e32 v12, v14, v12
	v_fma_f32 v14, v101, s7, -v103
	v_add_f32_e32 v6, v45, v6
	v_fmac_f32_e32 v7, 0x3f4178ce, v42
	v_mul_f32_e32 v129, 0xbf75a155, v43
	v_add_f32_e32 v90, v90, v45
	v_add_f32_e32 v12, v14, v12
	v_fma_f32 v14, v104, s12, -v106
	v_fmac_f32_e32 v107, 0xbf4178ce, v46
	v_add_f32_e32 v6, v7, v6
	v_mov_b32_e32 v7, v129
	v_add_f32_e32 v47, v47, v90
	v_add_f32_e32 v12, v14, v12
	;; [unrolled: 1-line block ×3, first 2 shown]
	v_fmac_f32_e32 v108, 0x3f7d64f0, v42
	v_fmac_f32_e32 v7, 0xbe903f40, v40
	v_mul_f32_e32 v130, 0xbe11bafb, v8
	v_add_f32_e32 v18, v18, v47
	v_add_f32_e32 v14, v108, v14
	v_fmac_f32_e32 v109, 0xbf0a6770, v40
	v_add_f32_e32 v6, v7, v6
	v_mov_b32_e32 v7, v130
	v_add_f32_e32 v18, v54, v18
	v_add_f32_e32 v14, v109, v14
	v_fmac_f32_e32 v110, 0xbe903f40, v50
	v_fmac_f32_e32 v7, 0xbf7d64f0, v50
	v_mul_f32_e32 v131, 0x3f575c64, v9
	v_add_f32_e32 v18, v51, v18
	v_add_f32_e32 v14, v110, v14
	v_fmac_f32_e32 v111, 0x3f68dda4, v48
	v_add_f32_e32 v6, v7, v6
	v_mov_b32_e32 v7, v131
	v_add_f32_e32 v11, v11, v18
	v_add_f32_e32 v15, v111, v14
	v_fma_f32 v14, v58, s6, -v112
	v_fmac_f32_e32 v7, 0xbf0a6770, v48
	v_mul_f32_e32 v132, 0xbf68dda4, v93
	v_add_f32_e32 v11, v16, v11
	v_add_f32_e32 v14, v44, v14
	v_fma_f32 v16, v95, s12, -v113
	v_add_f32_e32 v7, v7, v6
	v_mov_b32_e32 v6, v132
	v_mul_f32_e32 v133, 0xbf4178ce, v96
	v_add_f32_e32 v14, v16, v14
	v_fma_f32 v16, v98, s1, -v114
	v_fmac_f32_e32 v6, 0x3ed4b147, v58
	v_mov_b32_e32 v134, v133
	v_add_f32_e32 v14, v16, v14
	v_fma_f32 v16, v101, s0, -v115
	v_add_f32_e32 v6, v44, v6
	v_fmac_f32_e32 v134, 0xbf27a4f4, v95
	v_add_f32_e32 v14, v16, v14
	v_fma_f32 v16, v104, s7, -v116
	v_fmac_f32_e32 v117, 0xbf7d64f0, v46
	v_add_f32_e32 v6, v134, v6
	v_mul_f32_e32 v134, 0x3e903f40, v99
	v_add_f32_e32 v14, v16, v14
	v_add_f32_e32 v16, v45, v117
	v_fmac_f32_e32 v118, 0x3e903f40, v42
	v_mov_b32_e32 v135, v134
	v_add_f32_e32 v16, v118, v16
	v_fmac_f32_e32 v119, 0x3f68dda4, v40
	v_fmac_f32_e32 v135, 0xbf75a155, v98
	v_add_f32_e32 v16, v119, v16
	v_fmac_f32_e32 v120, 0xbf0a6770, v50
	v_add_f32_e32 v6, v135, v6
	v_mul_f32_e32 v135, 0x3f7d64f0, v102
	v_add_f32_e32 v16, v120, v16
	v_fmac_f32_e32 v121, 0xbf4178ce, v48
	v_mov_b32_e32 v136, v135
	v_add_f32_e32 v11, v17, v11
	v_add_f32_e32 v17, v121, v16
	v_fma_f32 v16, v58, s12, -v122
	v_fmac_f32_e32 v136, 0xbe11bafb, v101
	v_add_f32_e32 v16, v44, v16
	v_fma_f32 v18, v95, s0, -v123
	v_add_f32_e32 v6, v136, v6
	v_mul_f32_e32 v136, 0x3f0a6770, v105
	v_add_f32_e32 v16, v18, v16
	v_fma_f32 v18, v98, s7, -v124
	v_mov_b32_e32 v137, v136
	v_add_f32_e32 v16, v18, v16
	v_fma_f32 v18, v101, s1, -v125
	v_fmac_f32_e32 v137, 0x3f575c64, v104
	v_mul_f32_e32 v91, 0x3f575c64, v91
	v_add_f32_e32 v16, v18, v16
	v_fma_f32 v18, v104, s6, -v126
	v_fmac_f32_e32 v127, 0xbf68dda4, v46
	v_add_f32_e32 v6, v137, v6
	v_mov_b32_e32 v137, v91
	v_mul_f32_e32 v79, 0x3ed4b147, v79
	v_add_f32_e32 v16, v18, v16
	v_add_f32_e32 v18, v45, v127
	v_fmac_f32_e32 v128, 0xbf4178ce, v42
	v_fmac_f32_e32 v137, 0x3f0a6770, v46
	v_mov_b32_e32 v138, v79
	v_add_f32_e32 v18, v128, v18
	v_fmac_f32_e32 v129, 0x3e903f40, v40
	v_add_f32_e32 v137, v45, v137
	v_fmac_f32_e32 v138, 0x3f68dda4, v42
	v_mul_f32_e32 v43, 0xbe11bafb, v43
	v_add_f32_e32 v18, v129, v18
	v_fmac_f32_e32 v130, 0x3f7d64f0, v50
	v_add_f32_e32 v137, v138, v137
	v_mov_b32_e32 v138, v43
	v_add_f32_e32 v18, v130, v18
	v_fmac_f32_e32 v131, 0x3f0a6770, v48
	v_fmac_f32_e32 v138, 0x3f7d64f0, v40
	v_add_f32_e32 v11, v19, v11
	v_add_f32_e32 v19, v131, v18
	v_fma_f32 v18, v58, s7, -v132
	v_add_f32_e32 v137, v138, v137
	v_mul_f32_e32 v138, 0xbf27a4f4, v8
	v_add_f32_e32 v18, v44, v18
	v_fma_f32 v41, v95, s6, -v133
	v_mov_b32_e32 v8, v138
	v_add_f32_e32 v18, v41, v18
	v_fma_f32 v41, v98, s0, -v134
	v_fmac_f32_e32 v8, 0x3f4178ce, v50
	v_add_f32_e32 v18, v41, v18
	v_fma_f32 v41, v101, s12, -v135
	v_add_f32_e32 v8, v8, v137
	v_mul_f32_e32 v137, 0xbf75a155, v9
	v_add_f32_e32 v18, v41, v18
	v_fma_f32 v41, v104, s1, -v136
	v_fmac_f32_e32 v91, 0xbf0a6770, v46
	v_mov_b32_e32 v9, v137
	v_add_f32_e32 v18, v41, v18
	v_add_f32_e32 v41, v45, v91
	v_fmac_f32_e32 v79, 0xbf68dda4, v42
	v_fmac_f32_e32 v9, 0x3e903f40, v48
	v_mul_f32_e32 v93, 0xbf0a6770, v93
	v_add_f32_e32 v41, v79, v41
	v_fmac_f32_e32 v43, 0xbf7d64f0, v40
	v_add_f32_e32 v9, v9, v8
	v_mov_b32_e32 v8, v93
	v_mul_f32_e32 v96, 0xbf68dda4, v96
	v_add_f32_e32 v40, v43, v41
	v_fmac_f32_e32 v138, 0xbf4178ce, v50
	v_fmac_f32_e32 v8, 0x3f575c64, v58
	v_mov_b32_e32 v139, v96
	v_add_f32_e32 v40, v138, v40
	v_fmac_f32_e32 v137, 0xbe903f40, v48
	v_add_f32_e32 v8, v44, v8
	v_fmac_f32_e32 v139, 0x3ed4b147, v95
	v_mul_f32_e32 v99, 0xbf7d64f0, v99
	v_add_f32_e32 v41, v137, v40
	v_fma_f32 v40, v58, s1, -v93
	v_add_f32_e32 v8, v139, v8
	v_mov_b32_e32 v139, v99
	v_add_f32_e32 v40, v44, v40
	v_fma_f32 v42, v95, s7, -v96
	v_fmac_f32_e32 v139, 0xbe11bafb, v98
	v_mul_f32_e32 v102, 0xbf4178ce, v102
	v_add_f32_e32 v40, v42, v40
	v_fma_f32 v42, v98, s12, -v99
	v_add_f32_e32 v8, v139, v8
	v_mov_b32_e32 v139, v102
	v_mul_f32_e32 v105, 0xbe903f40, v105
	v_add_f32_e32 v40, v42, v40
	v_fma_f32 v42, v101, s6, -v102
	v_fmac_f32_e32 v139, 0xbf27a4f4, v101
	v_add_f32_e32 v40, v42, v40
	v_fma_f32 v42, v104, s0, -v105
	v_add_f32_e32 v8, v139, v8
	v_mov_b32_e32 v139, v105
	v_add_f32_e32 v40, v42, v40
	v_mul_u32_u24_e32 v42, 0x63, v84
	v_fmac_f32_e32 v139, 0xbf75a155, v104
	v_add_u32_sdwa v42, v42, v85 dst_sel:DWORD dst_unused:UNUSED_PAD src0_sel:DWORD src1_sel:BYTE_0
	v_add_f32_e32 v8, v139, v8
	v_add_f32_e32 v11, v89, v11
	v_lshl_add_u32 v42, v42, 3, v83
	ds_write2_b64 v42, v[10:11], v[8:9] offset1:9
	ds_write2_b64 v42, v[6:7], v[4:5] offset0:18 offset1:27
	ds_write2_b64 v42, v[2:3], v[0:1] offset0:36 offset1:45
	;; [unrolled: 1-line block ×4, first 2 shown]
	ds_write_b64 v42, v[40:41] offset:720
.LBB0_9:
	s_or_b64 exec, exec, s[2:3]
	v_add_u32_e32 v40, 0x400, v81
	s_waitcnt lgkmcnt(0)
	s_barrier
	ds_read2_b64 v[4:7], v40 offset0:70 offset1:169
	v_add_u32_e32 v41, 0x1000, v81
	ds_read2_b64 v[8:11], v41 offset0:82 offset1:181
	v_add_u32_e32 v42, 0x800, v81
	ds_read2_b64 v[0:3], v81 offset1:99
	ds_read2_b64 v[12:15], v42 offset0:140 offset1:239
	ds_read_b64 v[18:19], v81 offset:6336
	s_waitcnt lgkmcnt(4)
	v_mul_f32_e32 v43, v21, v7
	v_fmac_f32_e32 v43, v20, v6
	v_mul_f32_e32 v6, v21, v6
	v_fma_f32 v44, v20, v7, -v6
	s_waitcnt lgkmcnt(3)
	v_mul_f32_e32 v6, v23, v8
	v_mul_f32_e32 v45, v23, v9
	v_fma_f32 v9, v22, v9, -v6
	s_waitcnt lgkmcnt(1)
	v_mul_f32_e32 v6, v21, v12
	v_mul_f32_e32 v46, v21, v13
	v_fma_f32 v13, v20, v13, -v6
	v_mul_f32_e32 v6, v23, v10
	v_fmac_f32_e32 v45, v22, v8
	v_fmac_f32_e32 v46, v20, v12
	v_mul_f32_e32 v20, v23, v11
	v_fma_f32 v21, v22, v11, -v6
	v_mul_f32_e32 v6, v25, v14
	v_fmac_f32_e32 v20, v22, v10
	v_mul_f32_e32 v22, v25, v15
	v_fma_f32 v23, v24, v15, -v6
	s_waitcnt lgkmcnt(0)
	v_mul_f32_e32 v6, v27, v18
	v_add_f32_e32 v7, v43, v45
	v_fmac_f32_e32 v22, v24, v14
	v_mul_f32_e32 v24, v27, v19
	v_fma_f32 v19, v26, v19, -v6
	v_add_f32_e32 v6, v0, v43
	v_fma_f32 v0, -0.5, v7, v0
	v_sub_f32_e32 v7, v44, v9
	v_mov_b32_e32 v8, v0
	v_fmac_f32_e32 v8, 0xbf5db3d7, v7
	v_fmac_f32_e32 v0, 0x3f5db3d7, v7
	v_add_f32_e32 v7, v1, v44
	v_add_f32_e32 v7, v7, v9
	;; [unrolled: 1-line block ×3, first 2 shown]
	v_fma_f32 v1, -0.5, v9, v1
	v_sub_f32_e32 v10, v43, v45
	v_mov_b32_e32 v9, v1
	v_add_f32_e32 v11, v46, v20
	v_fmac_f32_e32 v9, 0x3f5db3d7, v10
	v_fmac_f32_e32 v1, 0xbf5db3d7, v10
	v_add_f32_e32 v10, v2, v46
	v_fma_f32 v2, -0.5, v11, v2
	v_sub_f32_e32 v11, v13, v21
	v_mov_b32_e32 v12, v2
	v_fmac_f32_e32 v12, 0xbf5db3d7, v11
	v_fmac_f32_e32 v2, 0x3f5db3d7, v11
	v_add_f32_e32 v11, v3, v13
	v_add_f32_e32 v13, v13, v21
	v_fmac_f32_e32 v24, v26, v18
	v_fmac_f32_e32 v3, -0.5, v13
	v_sub_f32_e32 v14, v46, v20
	v_mov_b32_e32 v13, v3
	v_add_f32_e32 v15, v22, v24
	v_fmac_f32_e32 v13, 0x3f5db3d7, v14
	v_fmac_f32_e32 v3, 0xbf5db3d7, v14
	v_add_f32_e32 v14, v4, v22
	v_fma_f32 v4, -0.5, v15, v4
	v_sub_f32_e32 v15, v23, v19
	v_mov_b32_e32 v18, v4
	v_fmac_f32_e32 v18, 0xbf5db3d7, v15
	v_fmac_f32_e32 v4, 0x3f5db3d7, v15
	v_add_f32_e32 v15, v5, v23
	v_add_f32_e32 v15, v15, v19
	;; [unrolled: 1-line block ×3, first 2 shown]
	v_fmac_f32_e32 v5, -0.5, v19
	v_add_f32_e32 v6, v6, v45
	v_add_f32_e32 v10, v10, v20
	v_sub_f32_e32 v20, v22, v24
	v_mov_b32_e32 v19, v5
	v_add_f32_e32 v11, v11, v21
	v_add_f32_e32 v14, v14, v24
	v_fmac_f32_e32 v19, 0x3f5db3d7, v20
	v_fmac_f32_e32 v5, 0xbf5db3d7, v20
	s_barrier
	ds_write2_b64 v81, v[6:7], v[8:9] offset1:99
	ds_write2_b64 v40, v[0:1], v[10:11] offset0:70 offset1:169
	ds_write2_b64 v42, v[12:13], v[2:3] offset0:140 offset1:239
	v_add_u32_e32 v0, 0x1000, v87
	ds_write2_b64 v0, v[14:15], v[18:19] offset0:82 offset1:181
	ds_write_b64 v87, v[4:5] offset:6336
	s_waitcnt lgkmcnt(0)
	s_barrier
	ds_read2_b64 v[0:3], v40 offset0:70 offset1:169
	ds_read2_b64 v[4:7], v81 offset1:99
	ds_read2_b64 v[8:11], v41 offset0:82 offset1:181
	ds_read2_b64 v[12:15], v42 offset0:140 offset1:239
	ds_read_b64 v[18:19], v81 offset:6336
	s_waitcnt lgkmcnt(4)
	v_mul_f32_e32 v20, v29, v3
	v_fmac_f32_e32 v20, v28, v2
	v_mul_f32_e32 v2, v29, v2
	v_fma_f32 v21, v28, v3, -v2
	s_waitcnt lgkmcnt(2)
	v_mul_f32_e32 v2, v31, v8
	v_mul_f32_e32 v22, v31, v9
	v_fma_f32 v9, v30, v9, -v2
	s_waitcnt lgkmcnt(1)
	v_mul_f32_e32 v2, v33, v12
	v_mul_f32_e32 v23, v33, v13
	v_fma_f32 v13, v32, v13, -v2
	v_mul_f32_e32 v2, v35, v10
	v_fmac_f32_e32 v22, v30, v8
	v_fma_f32 v25, v34, v11, -v2
	v_mul_f32_e32 v2, v37, v14
	v_fma_f32 v27, v36, v15, -v2
	s_waitcnt lgkmcnt(0)
	v_mul_f32_e32 v2, v39, v18
	v_add_f32_e32 v3, v20, v22
	v_mul_f32_e32 v28, v39, v19
	v_fma_f32 v19, v38, v19, -v2
	v_add_f32_e32 v2, v4, v20
	v_fma_f32 v4, -0.5, v3, v4
	v_sub_f32_e32 v3, v21, v9
	v_mov_b32_e32 v8, v4
	v_fmac_f32_e32 v8, 0xbf5db3d7, v3
	v_fmac_f32_e32 v4, 0x3f5db3d7, v3
	v_add_f32_e32 v3, v5, v21
	v_mul_f32_e32 v24, v35, v11
	v_add_f32_e32 v3, v3, v9
	v_add_f32_e32 v9, v21, v9
	v_fmac_f32_e32 v23, v32, v12
	v_fmac_f32_e32 v24, v34, v10
	v_fma_f32 v5, -0.5, v9, v5
	v_sub_f32_e32 v10, v20, v22
	v_mov_b32_e32 v9, v5
	v_add_f32_e32 v11, v23, v24
	v_fmac_f32_e32 v9, 0x3f5db3d7, v10
	v_fmac_f32_e32 v5, 0xbf5db3d7, v10
	v_add_f32_e32 v10, v6, v23
	v_fma_f32 v6, -0.5, v11, v6
	v_sub_f32_e32 v11, v13, v25
	v_mov_b32_e32 v12, v6
	v_mul_f32_e32 v26, v37, v15
	v_fmac_f32_e32 v12, 0xbf5db3d7, v11
	v_fmac_f32_e32 v6, 0x3f5db3d7, v11
	v_add_f32_e32 v11, v7, v13
	v_add_f32_e32 v13, v13, v25
	v_fmac_f32_e32 v26, v36, v14
	v_fmac_f32_e32 v28, v38, v18
	v_fmac_f32_e32 v7, -0.5, v13
	v_sub_f32_e32 v14, v23, v24
	v_mov_b32_e32 v13, v7
	v_add_f32_e32 v15, v26, v28
	v_fmac_f32_e32 v13, 0x3f5db3d7, v14
	v_fmac_f32_e32 v7, 0xbf5db3d7, v14
	v_add_f32_e32 v14, v0, v26
	v_fma_f32 v0, -0.5, v15, v0
	v_sub_f32_e32 v15, v27, v19
	v_mov_b32_e32 v18, v0
	v_fmac_f32_e32 v18, 0xbf5db3d7, v15
	v_fmac_f32_e32 v0, 0x3f5db3d7, v15
	v_add_f32_e32 v15, v1, v27
	v_add_f32_e32 v15, v15, v19
	;; [unrolled: 1-line block ×3, first 2 shown]
	v_fmac_f32_e32 v1, -0.5, v19
	v_sub_f32_e32 v20, v26, v28
	v_add_f32_e32 v2, v2, v22
	v_mov_b32_e32 v19, v1
	v_fmac_f32_e32 v1, 0xbf5db3d7, v20
	v_add_f32_e32 v10, v10, v24
	v_add_f32_e32 v11, v11, v25
	;; [unrolled: 1-line block ×3, first 2 shown]
	v_fmac_f32_e32 v19, 0x3f5db3d7, v20
	ds_write_b64 v81, v[8:9] offset:2376
	ds_write_b64 v81, v[4:5] offset:4752
	ds_write2_b64 v81, v[2:3], v[10:11] offset1:99
	ds_write_b64 v88, v[12:13] offset:3168
	ds_write_b64 v88, v[6:7] offset:5544
	;; [unrolled: 1-line block ×5, first 2 shown]
	s_waitcnt lgkmcnt(0)
	s_barrier
	ds_read2_b64 v[0:3], v81 offset1:99
	v_mad_u64_u32 v[16:17], s[0:1], s10, v62, 0
	s_mov_b32 s0, 0x7210aa18
	s_mov_b32 s1, 0x3f526369
	s_waitcnt lgkmcnt(0)
	v_mul_f32_e32 v5, v78, v1
	v_fmac_f32_e32 v5, v77, v0
	v_cvt_f64_f32_e32 v[5:6], v5
	v_mul_f32_e32 v0, v78, v0
	v_fma_f32 v0, v77, v1, -v0
	v_cvt_f64_f32_e32 v[0:1], v0
	v_mul_f64 v[5:6], v[5:6], s[0:1]
	v_mad_u64_u32 v[7:8], s[2:3], s8, v82, 0
	v_mov_b32_e32 v4, v17
	v_mul_f64 v[0:1], v[0:1], s[0:1]
	v_mad_u64_u32 v[9:10], s[2:3], s11, v62, v[4:5]
	v_mov_b32_e32 v4, v8
	v_mad_u64_u32 v[10:11], s[2:3], s9, v82, v[4:5]
	v_mov_b32_e32 v17, v9
	v_mul_f32_e32 v9, v76, v3
	v_fmac_f32_e32 v9, v75, v2
	v_mov_b32_e32 v8, v10
	v_cvt_f64_f32_e32 v[9:10], v9
	v_cvt_f32_f64_e32 v4, v[5:6]
	v_cvt_f32_f64_e32 v5, v[0:1]
	v_lshlrev_b64 v[0:1], 3, v[16:17]
	v_mul_f32_e32 v2, v76, v2
	v_fma_f32 v2, v75, v3, -v2
	v_mov_b32_e32 v6, s5
	v_cvt_f64_f32_e32 v[2:3], v2
	v_add_co_u32_e32 v11, vcc, s4, v0
	v_addc_co_u32_e32 v12, vcc, v6, v1, vcc
	v_lshlrev_b64 v[0:1], 3, v[7:8]
	v_mul_f64 v[6:7], v[9:10], s[0:1]
	v_add_co_u32_e32 v10, vcc, v11, v0
	v_mul_f64 v[8:9], v[2:3], s[0:1]
	v_addc_co_u32_e32 v11, vcc, v12, v1, vcc
	ds_read2_b64 v[0:3], v40 offset0:70 offset1:169
	global_store_dwordx2 v[10:11], v[4:5], off
	v_cvt_f32_f64_e32 v4, v[6:7]
	s_mul_i32 s2, s9, 0x318
	s_mul_hi_u32 s3, s8, 0x318
	s_waitcnt lgkmcnt(0)
	v_mul_f32_e32 v6, v74, v1
	v_fmac_f32_e32 v6, v73, v0
	v_mul_f32_e32 v0, v74, v0
	v_fma_f32 v0, v73, v1, -v0
	v_cvt_f64_f32_e32 v[0:1], v0
	v_cvt_f64_f32_e32 v[6:7], v6
	v_cvt_f32_f64_e32 v5, v[8:9]
	s_add_i32 s2, s3, s2
	v_mul_f64 v[0:1], v[0:1], s[0:1]
	v_mul_f64 v[6:7], v[6:7], s[0:1]
	s_mul_i32 s3, s8, 0x318
	v_mov_b32_e32 v9, s2
	v_add_co_u32_e32 v8, vcc, s3, v10
	v_addc_co_u32_e32 v9, vcc, v11, v9, vcc
	global_store_dwordx2 v[8:9], v[4:5], off
	v_cvt_f32_f64_e32 v5, v[0:1]
	v_mul_f32_e32 v0, v70, v3
	v_fmac_f32_e32 v0, v69, v2
	v_cvt_f32_f64_e32 v4, v[6:7]
	v_cvt_f64_f32_e32 v[6:7], v0
	v_mul_f32_e32 v0, v70, v2
	v_fma_f32 v0, v69, v3, -v0
	v_cvt_f64_f32_e32 v[10:11], v0
	ds_read2_b64 v[0:3], v42 offset0:140 offset1:239
	v_mov_b32_e32 v12, s2
	v_add_co_u32_e32 v8, vcc, s3, v8
	v_addc_co_u32_e32 v9, vcc, v9, v12, vcc
	global_store_dwordx2 v[8:9], v[4:5], off
	v_mul_f64 v[4:5], v[6:7], s[0:1]
	v_mul_f64 v[6:7], v[10:11], s[0:1]
	s_waitcnt lgkmcnt(0)
	v_mul_f32_e32 v10, v72, v1
	v_fmac_f32_e32 v10, v71, v0
	v_mul_f32_e32 v0, v72, v0
	v_fma_f32 v0, v71, v1, -v0
	v_cvt_f64_f32_e32 v[0:1], v0
	v_cvt_f64_f32_e32 v[10:11], v10
	v_cvt_f32_f64_e32 v4, v[4:5]
	v_cvt_f32_f64_e32 v5, v[6:7]
	v_mul_f64 v[0:1], v[0:1], s[0:1]
	v_mul_f64 v[6:7], v[10:11], s[0:1]
	v_mov_b32_e32 v10, s2
	v_add_co_u32_e32 v8, vcc, s3, v8
	v_addc_co_u32_e32 v9, vcc, v9, v10, vcc
	global_store_dwordx2 v[8:9], v[4:5], off
	v_cvt_f32_f64_e32 v5, v[0:1]
	v_mul_f32_e32 v0, v68, v3
	v_fmac_f32_e32 v0, v67, v2
	v_cvt_f32_f64_e32 v4, v[6:7]
	v_cvt_f64_f32_e32 v[6:7], v0
	v_mul_f32_e32 v0, v68, v2
	v_fma_f32 v0, v67, v3, -v0
	v_cvt_f64_f32_e32 v[10:11], v0
	ds_read2_b64 v[0:3], v41 offset0:82 offset1:181
	v_add_co_u32_e32 v8, vcc, s3, v8
	v_addc_co_u32_e32 v9, vcc, v9, v12, vcc
	global_store_dwordx2 v[8:9], v[4:5], off
	v_mul_f64 v[4:5], v[6:7], s[0:1]
	v_mul_f64 v[6:7], v[10:11], s[0:1]
	s_waitcnt lgkmcnt(0)
	v_mul_f32_e32 v10, v66, v1
	v_fmac_f32_e32 v10, v65, v0
	v_mul_f32_e32 v0, v66, v0
	v_fma_f32 v0, v65, v1, -v0
	v_cvt_f64_f32_e32 v[0:1], v0
	v_cvt_f64_f32_e32 v[10:11], v10
	v_cvt_f32_f64_e32 v4, v[4:5]
	v_cvt_f32_f64_e32 v5, v[6:7]
	v_mul_f64 v[0:1], v[0:1], s[0:1]
	v_mul_f64 v[6:7], v[10:11], s[0:1]
	v_mov_b32_e32 v10, s2
	v_add_co_u32_e32 v8, vcc, s3, v8
	v_addc_co_u32_e32 v9, vcc, v9, v10, vcc
	global_store_dwordx2 v[8:9], v[4:5], off
	v_cvt_f32_f64_e32 v5, v[0:1]
	v_mul_f32_e32 v0, v64, v3
	v_fmac_f32_e32 v0, v63, v2
	v_mul_f32_e32 v2, v64, v2
	v_fma_f32 v2, v63, v3, -v2
	v_cvt_f32_f64_e32 v4, v[6:7]
	v_cvt_f64_f32_e32 v[0:1], v0
	v_cvt_f64_f32_e32 v[2:3], v2
	ds_read_b64 v[6:7], v81 offset:6336
	v_add_co_u32_e32 v8, vcc, s3, v8
	v_addc_co_u32_e32 v9, vcc, v9, v10, vcc
	v_mul_f64 v[0:1], v[0:1], s[0:1]
	v_mul_f64 v[2:3], v[2:3], s[0:1]
	global_store_dwordx2 v[8:9], v[4:5], off
	s_waitcnt lgkmcnt(0)
	v_mul_f32_e32 v4, v61, v7
	v_fmac_f32_e32 v4, v60, v6
	v_mul_f32_e32 v6, v61, v6
	v_fma_f32 v6, v60, v7, -v6
	v_cvt_f64_f32_e32 v[4:5], v4
	v_cvt_f64_f32_e32 v[6:7], v6
	v_cvt_f32_f64_e32 v0, v[0:1]
	v_cvt_f32_f64_e32 v1, v[2:3]
	v_mul_f64 v[2:3], v[4:5], s[0:1]
	v_mul_f64 v[4:5], v[6:7], s[0:1]
	v_mov_b32_e32 v7, s2
	v_add_co_u32_e32 v6, vcc, s3, v8
	v_addc_co_u32_e32 v7, vcc, v9, v7, vcc
	global_store_dwordx2 v[6:7], v[0:1], off
	v_cvt_f32_f64_e32 v0, v[2:3]
	v_cvt_f32_f64_e32 v1, v[4:5]
	v_mov_b32_e32 v3, s2
	v_add_co_u32_e32 v2, vcc, s3, v6
	v_addc_co_u32_e32 v3, vcc, v7, v3, vcc
	global_store_dwordx2 v[2:3], v[0:1], off
.LBB0_10:
	s_endpgm
	.section	.rodata,"a",@progbits
	.p2align	6, 0x0
	.amdhsa_kernel bluestein_single_fwd_len891_dim1_sp_op_CI_CI
		.amdhsa_group_segment_fixed_size 14256
		.amdhsa_private_segment_fixed_size 0
		.amdhsa_kernarg_size 104
		.amdhsa_user_sgpr_count 6
		.amdhsa_user_sgpr_private_segment_buffer 1
		.amdhsa_user_sgpr_dispatch_ptr 0
		.amdhsa_user_sgpr_queue_ptr 0
		.amdhsa_user_sgpr_kernarg_segment_ptr 1
		.amdhsa_user_sgpr_dispatch_id 0
		.amdhsa_user_sgpr_flat_scratch_init 0
		.amdhsa_user_sgpr_private_segment_size 0
		.amdhsa_uses_dynamic_stack 0
		.amdhsa_system_sgpr_private_segment_wavefront_offset 0
		.amdhsa_system_sgpr_workgroup_id_x 1
		.amdhsa_system_sgpr_workgroup_id_y 0
		.amdhsa_system_sgpr_workgroup_id_z 0
		.amdhsa_system_sgpr_workgroup_info 0
		.amdhsa_system_vgpr_workitem_id 0
		.amdhsa_next_free_vgpr 158
		.amdhsa_next_free_sgpr 20
		.amdhsa_reserve_vcc 1
		.amdhsa_reserve_flat_scratch 0
		.amdhsa_float_round_mode_32 0
		.amdhsa_float_round_mode_16_64 0
		.amdhsa_float_denorm_mode_32 3
		.amdhsa_float_denorm_mode_16_64 3
		.amdhsa_dx10_clamp 1
		.amdhsa_ieee_mode 1
		.amdhsa_fp16_overflow 0
		.amdhsa_exception_fp_ieee_invalid_op 0
		.amdhsa_exception_fp_denorm_src 0
		.amdhsa_exception_fp_ieee_div_zero 0
		.amdhsa_exception_fp_ieee_overflow 0
		.amdhsa_exception_fp_ieee_underflow 0
		.amdhsa_exception_fp_ieee_inexact 0
		.amdhsa_exception_int_div_zero 0
	.end_amdhsa_kernel
	.text
.Lfunc_end0:
	.size	bluestein_single_fwd_len891_dim1_sp_op_CI_CI, .Lfunc_end0-bluestein_single_fwd_len891_dim1_sp_op_CI_CI
                                        ; -- End function
	.section	.AMDGPU.csdata,"",@progbits
; Kernel info:
; codeLenInByte = 10536
; NumSgprs: 24
; NumVgprs: 158
; ScratchSize: 0
; MemoryBound: 0
; FloatMode: 240
; IeeeMode: 1
; LDSByteSize: 14256 bytes/workgroup (compile time only)
; SGPRBlocks: 2
; VGPRBlocks: 39
; NumSGPRsForWavesPerEU: 24
; NumVGPRsForWavesPerEU: 158
; Occupancy: 1
; WaveLimiterHint : 1
; COMPUTE_PGM_RSRC2:SCRATCH_EN: 0
; COMPUTE_PGM_RSRC2:USER_SGPR: 6
; COMPUTE_PGM_RSRC2:TRAP_HANDLER: 0
; COMPUTE_PGM_RSRC2:TGID_X_EN: 1
; COMPUTE_PGM_RSRC2:TGID_Y_EN: 0
; COMPUTE_PGM_RSRC2:TGID_Z_EN: 0
; COMPUTE_PGM_RSRC2:TIDIG_COMP_CNT: 0
	.type	__hip_cuid_f94c519e09ca676e,@object ; @__hip_cuid_f94c519e09ca676e
	.section	.bss,"aw",@nobits
	.globl	__hip_cuid_f94c519e09ca676e
__hip_cuid_f94c519e09ca676e:
	.byte	0                               ; 0x0
	.size	__hip_cuid_f94c519e09ca676e, 1

	.ident	"AMD clang version 19.0.0git (https://github.com/RadeonOpenCompute/llvm-project roc-6.4.0 25133 c7fe45cf4b819c5991fe208aaa96edf142730f1d)"
	.section	".note.GNU-stack","",@progbits
	.addrsig
	.addrsig_sym __hip_cuid_f94c519e09ca676e
	.amdgpu_metadata
---
amdhsa.kernels:
  - .args:
      - .actual_access:  read_only
        .address_space:  global
        .offset:         0
        .size:           8
        .value_kind:     global_buffer
      - .actual_access:  read_only
        .address_space:  global
        .offset:         8
        .size:           8
        .value_kind:     global_buffer
      - .actual_access:  read_only
        .address_space:  global
        .offset:         16
        .size:           8
        .value_kind:     global_buffer
      - .actual_access:  read_only
        .address_space:  global
        .offset:         24
        .size:           8
        .value_kind:     global_buffer
      - .actual_access:  read_only
        .address_space:  global
        .offset:         32
        .size:           8
        .value_kind:     global_buffer
      - .offset:         40
        .size:           8
        .value_kind:     by_value
      - .address_space:  global
        .offset:         48
        .size:           8
        .value_kind:     global_buffer
      - .address_space:  global
        .offset:         56
        .size:           8
        .value_kind:     global_buffer
      - .address_space:  global
        .offset:         64
        .size:           8
        .value_kind:     global_buffer
      - .address_space:  global
        .offset:         72
        .size:           8
        .value_kind:     global_buffer
      - .offset:         80
        .size:           4
        .value_kind:     by_value
      - .address_space:  global
        .offset:         88
        .size:           8
        .value_kind:     global_buffer
      - .address_space:  global
        .offset:         96
        .size:           8
        .value_kind:     global_buffer
    .group_segment_fixed_size: 14256
    .kernarg_segment_align: 8
    .kernarg_segment_size: 104
    .language:       OpenCL C
    .language_version:
      - 2
      - 0
    .max_flat_workgroup_size: 198
    .name:           bluestein_single_fwd_len891_dim1_sp_op_CI_CI
    .private_segment_fixed_size: 0
    .sgpr_count:     24
    .sgpr_spill_count: 0
    .symbol:         bluestein_single_fwd_len891_dim1_sp_op_CI_CI.kd
    .uniform_work_group_size: 1
    .uses_dynamic_stack: false
    .vgpr_count:     158
    .vgpr_spill_count: 0
    .wavefront_size: 64
amdhsa.target:   amdgcn-amd-amdhsa--gfx906
amdhsa.version:
  - 1
  - 2
...

	.end_amdgpu_metadata
